;; amdgpu-corpus repo=ROCm/rocFFT kind=compiled arch=gfx906 opt=O3
	.text
	.amdgcn_target "amdgcn-amd-amdhsa--gfx906"
	.amdhsa_code_object_version 6
	.protected	fft_rtc_back_len2430_factors_10_3_3_3_3_3_wgs_81_tpt_81_halfLds_dp_ip_CI_unitstride_sbrr_dirReg ; -- Begin function fft_rtc_back_len2430_factors_10_3_3_3_3_3_wgs_81_tpt_81_halfLds_dp_ip_CI_unitstride_sbrr_dirReg
	.globl	fft_rtc_back_len2430_factors_10_3_3_3_3_3_wgs_81_tpt_81_halfLds_dp_ip_CI_unitstride_sbrr_dirReg
	.p2align	8
	.type	fft_rtc_back_len2430_factors_10_3_3_3_3_3_wgs_81_tpt_81_halfLds_dp_ip_CI_unitstride_sbrr_dirReg,@function
fft_rtc_back_len2430_factors_10_3_3_3_3_3_wgs_81_tpt_81_halfLds_dp_ip_CI_unitstride_sbrr_dirReg: ; @fft_rtc_back_len2430_factors_10_3_3_3_3_3_wgs_81_tpt_81_halfLds_dp_ip_CI_unitstride_sbrr_dirReg
; %bb.0:
	s_load_dwordx2 s[2:3], s[4:5], 0x50
	s_load_dwordx4 s[8:11], s[4:5], 0x0
	s_load_dwordx2 s[12:13], s[4:5], 0x18
	v_mul_u32_u24_e32 v1, 0x32a, v0
	v_add_u32_sdwa v5, s6, v1 dst_sel:DWORD dst_unused:UNUSED_PAD src0_sel:DWORD src1_sel:WORD_1
	v_mov_b32_e32 v3, 0
	s_waitcnt lgkmcnt(0)
	v_cmp_lt_u64_e64 s[0:1], s[10:11], 2
	v_mov_b32_e32 v1, 0
	v_mov_b32_e32 v6, v3
	s_and_b64 vcc, exec, s[0:1]
	v_mov_b32_e32 v2, 0
	s_cbranch_vccnz .LBB0_8
; %bb.1:
	s_load_dwordx2 s[0:1], s[4:5], 0x10
	s_add_u32 s6, s12, 8
	s_addc_u32 s7, s13, 0
	v_mov_b32_e32 v1, 0
	v_mov_b32_e32 v2, 0
	s_waitcnt lgkmcnt(0)
	s_add_u32 s14, s0, 8
	s_addc_u32 s15, s1, 0
	s_mov_b64 s[16:17], 1
.LBB0_2:                                ; =>This Inner Loop Header: Depth=1
	s_load_dwordx2 s[18:19], s[14:15], 0x0
                                        ; implicit-def: $vgpr7_vgpr8
	s_waitcnt lgkmcnt(0)
	v_or_b32_e32 v4, s19, v6
	v_cmp_ne_u64_e32 vcc, 0, v[3:4]
	s_and_saveexec_b64 s[0:1], vcc
	s_xor_b64 s[20:21], exec, s[0:1]
	s_cbranch_execz .LBB0_4
; %bb.3:                                ;   in Loop: Header=BB0_2 Depth=1
	v_cvt_f32_u32_e32 v4, s18
	v_cvt_f32_u32_e32 v7, s19
	s_sub_u32 s0, 0, s18
	s_subb_u32 s1, 0, s19
	v_mac_f32_e32 v4, 0x4f800000, v7
	v_rcp_f32_e32 v4, v4
	v_mul_f32_e32 v4, 0x5f7ffffc, v4
	v_mul_f32_e32 v7, 0x2f800000, v4
	v_trunc_f32_e32 v7, v7
	v_mac_f32_e32 v4, 0xcf800000, v7
	v_cvt_u32_f32_e32 v7, v7
	v_cvt_u32_f32_e32 v4, v4
	v_mul_lo_u32 v8, s0, v7
	v_mul_hi_u32 v9, s0, v4
	v_mul_lo_u32 v11, s1, v4
	v_mul_lo_u32 v10, s0, v4
	v_add_u32_e32 v8, v9, v8
	v_add_u32_e32 v8, v8, v11
	v_mul_hi_u32 v9, v4, v10
	v_mul_lo_u32 v11, v4, v8
	v_mul_hi_u32 v13, v4, v8
	v_mul_hi_u32 v12, v7, v10
	v_mul_lo_u32 v10, v7, v10
	v_mul_hi_u32 v14, v7, v8
	v_add_co_u32_e32 v9, vcc, v9, v11
	v_addc_co_u32_e32 v11, vcc, 0, v13, vcc
	v_mul_lo_u32 v8, v7, v8
	v_add_co_u32_e32 v9, vcc, v9, v10
	v_addc_co_u32_e32 v9, vcc, v11, v12, vcc
	v_addc_co_u32_e32 v10, vcc, 0, v14, vcc
	v_add_co_u32_e32 v8, vcc, v9, v8
	v_addc_co_u32_e32 v9, vcc, 0, v10, vcc
	v_add_co_u32_e32 v4, vcc, v4, v8
	v_addc_co_u32_e32 v7, vcc, v7, v9, vcc
	v_mul_lo_u32 v8, s0, v7
	v_mul_hi_u32 v9, s0, v4
	v_mul_lo_u32 v10, s1, v4
	v_mul_lo_u32 v11, s0, v4
	v_add_u32_e32 v8, v9, v8
	v_add_u32_e32 v8, v8, v10
	v_mul_lo_u32 v12, v4, v8
	v_mul_hi_u32 v13, v4, v11
	v_mul_hi_u32 v14, v4, v8
	;; [unrolled: 1-line block ×3, first 2 shown]
	v_mul_lo_u32 v11, v7, v11
	v_mul_hi_u32 v9, v7, v8
	v_add_co_u32_e32 v12, vcc, v13, v12
	v_addc_co_u32_e32 v13, vcc, 0, v14, vcc
	v_mul_lo_u32 v8, v7, v8
	v_add_co_u32_e32 v11, vcc, v12, v11
	v_addc_co_u32_e32 v10, vcc, v13, v10, vcc
	v_addc_co_u32_e32 v9, vcc, 0, v9, vcc
	v_add_co_u32_e32 v8, vcc, v10, v8
	v_addc_co_u32_e32 v9, vcc, 0, v9, vcc
	v_add_co_u32_e32 v4, vcc, v4, v8
	v_addc_co_u32_e32 v9, vcc, v7, v9, vcc
	v_mad_u64_u32 v[7:8], s[0:1], v5, v9, 0
	v_mul_hi_u32 v10, v5, v4
	v_add_co_u32_e32 v11, vcc, v10, v7
	v_addc_co_u32_e32 v12, vcc, 0, v8, vcc
	v_mad_u64_u32 v[7:8], s[0:1], v6, v4, 0
	v_mad_u64_u32 v[9:10], s[0:1], v6, v9, 0
	v_add_co_u32_e32 v4, vcc, v11, v7
	v_addc_co_u32_e32 v4, vcc, v12, v8, vcc
	v_addc_co_u32_e32 v7, vcc, 0, v10, vcc
	v_add_co_u32_e32 v4, vcc, v4, v9
	v_addc_co_u32_e32 v9, vcc, 0, v7, vcc
	v_mul_lo_u32 v10, s19, v4
	v_mul_lo_u32 v11, s18, v9
	v_mad_u64_u32 v[7:8], s[0:1], s18, v4, 0
	v_add3_u32 v8, v8, v11, v10
	v_sub_u32_e32 v10, v6, v8
	v_mov_b32_e32 v11, s19
	v_sub_co_u32_e32 v7, vcc, v5, v7
	v_subb_co_u32_e64 v10, s[0:1], v10, v11, vcc
	v_subrev_co_u32_e64 v11, s[0:1], s18, v7
	v_subbrev_co_u32_e64 v10, s[0:1], 0, v10, s[0:1]
	v_cmp_le_u32_e64 s[0:1], s19, v10
	v_cndmask_b32_e64 v12, 0, -1, s[0:1]
	v_cmp_le_u32_e64 s[0:1], s18, v11
	v_cndmask_b32_e64 v11, 0, -1, s[0:1]
	v_cmp_eq_u32_e64 s[0:1], s19, v10
	v_cndmask_b32_e64 v10, v12, v11, s[0:1]
	v_add_co_u32_e64 v11, s[0:1], 2, v4
	v_addc_co_u32_e64 v12, s[0:1], 0, v9, s[0:1]
	v_add_co_u32_e64 v13, s[0:1], 1, v4
	v_addc_co_u32_e64 v14, s[0:1], 0, v9, s[0:1]
	v_subb_co_u32_e32 v8, vcc, v6, v8, vcc
	v_cmp_ne_u32_e64 s[0:1], 0, v10
	v_cmp_le_u32_e32 vcc, s19, v8
	v_cndmask_b32_e64 v10, v14, v12, s[0:1]
	v_cndmask_b32_e64 v12, 0, -1, vcc
	v_cmp_le_u32_e32 vcc, s18, v7
	v_cndmask_b32_e64 v7, 0, -1, vcc
	v_cmp_eq_u32_e32 vcc, s19, v8
	v_cndmask_b32_e32 v7, v12, v7, vcc
	v_cmp_ne_u32_e32 vcc, 0, v7
	v_cndmask_b32_e64 v7, v13, v11, s[0:1]
	v_cndmask_b32_e32 v8, v9, v10, vcc
	v_cndmask_b32_e32 v7, v4, v7, vcc
.LBB0_4:                                ;   in Loop: Header=BB0_2 Depth=1
	s_andn2_saveexec_b64 s[0:1], s[20:21]
	s_cbranch_execz .LBB0_6
; %bb.5:                                ;   in Loop: Header=BB0_2 Depth=1
	v_cvt_f32_u32_e32 v4, s18
	s_sub_i32 s20, 0, s18
	v_rcp_iflag_f32_e32 v4, v4
	v_mul_f32_e32 v4, 0x4f7ffffe, v4
	v_cvt_u32_f32_e32 v4, v4
	v_mul_lo_u32 v7, s20, v4
	v_mul_hi_u32 v7, v4, v7
	v_add_u32_e32 v4, v4, v7
	v_mul_hi_u32 v4, v5, v4
	v_mul_lo_u32 v7, v4, s18
	v_add_u32_e32 v8, 1, v4
	v_sub_u32_e32 v7, v5, v7
	v_subrev_u32_e32 v9, s18, v7
	v_cmp_le_u32_e32 vcc, s18, v7
	v_cndmask_b32_e32 v7, v7, v9, vcc
	v_cndmask_b32_e32 v4, v4, v8, vcc
	v_add_u32_e32 v8, 1, v4
	v_cmp_le_u32_e32 vcc, s18, v7
	v_cndmask_b32_e32 v7, v4, v8, vcc
	v_mov_b32_e32 v8, v3
.LBB0_6:                                ;   in Loop: Header=BB0_2 Depth=1
	s_or_b64 exec, exec, s[0:1]
	v_mul_lo_u32 v4, v8, s18
	v_mul_lo_u32 v11, v7, s19
	v_mad_u64_u32 v[9:10], s[0:1], v7, s18, 0
	s_load_dwordx2 s[0:1], s[6:7], 0x0
	s_add_u32 s16, s16, 1
	v_add3_u32 v4, v10, v11, v4
	v_sub_co_u32_e32 v5, vcc, v5, v9
	v_subb_co_u32_e32 v4, vcc, v6, v4, vcc
	s_waitcnt lgkmcnt(0)
	v_mul_lo_u32 v4, s0, v4
	v_mul_lo_u32 v6, s1, v5
	v_mad_u64_u32 v[1:2], s[0:1], s0, v5, v[1:2]
	s_addc_u32 s17, s17, 0
	s_add_u32 s6, s6, 8
	v_add3_u32 v2, v6, v2, v4
	v_mov_b32_e32 v4, s10
	v_mov_b32_e32 v5, s11
	s_addc_u32 s7, s7, 0
	v_cmp_ge_u64_e32 vcc, s[16:17], v[4:5]
	s_add_u32 s14, s14, 8
	s_addc_u32 s15, s15, 0
	s_cbranch_vccnz .LBB0_9
; %bb.7:                                ;   in Loop: Header=BB0_2 Depth=1
	v_mov_b32_e32 v5, v7
	v_mov_b32_e32 v6, v8
	s_branch .LBB0_2
.LBB0_8:
	v_mov_b32_e32 v8, v6
	v_mov_b32_e32 v7, v5
.LBB0_9:
	s_lshl_b64 s[0:1], s[10:11], 3
	s_add_u32 s0, s12, s0
	s_addc_u32 s1, s13, s1
	s_load_dwordx2 s[6:7], s[0:1], 0x0
	s_load_dwordx2 s[10:11], s[4:5], 0x20
                                        ; implicit-def: $vgpr22_vgpr23
                                        ; implicit-def: $vgpr30_vgpr31
                                        ; implicit-def: $vgpr18_vgpr19
                                        ; implicit-def: $vgpr34_vgpr35
                                        ; implicit-def: $vgpr26_vgpr27
                                        ; implicit-def: $vgpr38_vgpr39
                                        ; implicit-def: $vgpr10_vgpr11
                                        ; implicit-def: $vgpr14_vgpr15
                                        ; implicit-def: $vgpr102_vgpr103
                                        ; implicit-def: $vgpr110_vgpr111
                                        ; implicit-def: $vgpr98_vgpr99
                                        ; implicit-def: $vgpr114_vgpr115
                                        ; implicit-def: $vgpr106_vgpr107
                                        ; implicit-def: $vgpr118_vgpr119
                                        ; implicit-def: $vgpr94_vgpr95
                                        ; implicit-def: $vgpr58_vgpr59
                                        ; implicit-def: $vgpr54_vgpr55
                                        ; implicit-def: $vgpr42_vgpr43
                                        ; implicit-def: $vgpr74_vgpr75
                                        ; implicit-def: $vgpr82_vgpr83
                                        ; implicit-def: $vgpr70_vgpr71
                                        ; implicit-def: $vgpr86_vgpr87
                                        ; implicit-def: $vgpr78_vgpr79
                                        ; implicit-def: $vgpr90_vgpr91
                                        ; implicit-def: $vgpr66_vgpr67
                                        ; implicit-def: $vgpr62_vgpr63
                                        ; implicit-def: $vgpr46_vgpr47
                                        ; implicit-def: $vgpr50_vgpr51
	s_waitcnt lgkmcnt(0)
	v_mad_u64_u32 v[1:2], s[0:1], s6, v7, v[1:2]
	v_mul_lo_u32 v3, s6, v8
	v_mul_lo_u32 v4, s7, v7
	s_mov_b32 s0, 0x3291620
	v_mul_hi_u32 v5, v0, s0
	v_cmp_gt_u64_e64 s[0:1], s[10:11], v[7:8]
	v_add3_u32 v2, v4, v2, v3
	v_lshlrev_b64 v[122:123], 4, v[1:2]
	v_mul_u32_u24_e32 v3, 0x51, v5
	v_sub_u32_e32 v120, v0, v3
                                        ; implicit-def: $vgpr2_vgpr3
                                        ; implicit-def: $vgpr6_vgpr7
	s_and_saveexec_b64 s[4:5], s[0:1]
	s_cbranch_execz .LBB0_11
; %bb.10:
	v_mov_b32_e32 v121, 0
	v_mov_b32_e32 v0, s3
	v_add_co_u32_e32 v2, vcc, s2, v122
	v_addc_co_u32_e32 v3, vcc, v0, v123, vcc
	v_lshlrev_b64 v[0:1], 4, v[120:121]
	s_movk_i32 s6, 0x1000
	v_add_co_u32_e32 v8, vcc, v2, v0
	v_addc_co_u32_e32 v9, vcc, v3, v1, vcc
	v_add_co_u32_e32 v10, vcc, s6, v8
	v_addc_co_u32_e32 v11, vcc, 0, v9, vcc
	s_movk_i32 s6, 0x2000
	v_add_co_u32_e32 v16, vcc, s6, v8
	v_addc_co_u32_e32 v17, vcc, 0, v9, vcc
	s_movk_i32 s6, 0x3000
	;; [unrolled: 3-line block ×6, first 2 shown]
	v_add_co_u32_e32 v124, vcc, s6, v8
	v_addc_co_u32_e32 v125, vcc, 0, v9, vcc
	s_mov_b32 s6, 0x8000
	v_add_co_u32_e32 v126, vcc, s6, v8
	v_addc_co_u32_e32 v127, vcc, 0, v9, vcc
	v_add_co_u32_e32 v128, vcc, 0x9000, v8
	global_load_dwordx4 v[48:51], v[8:9], off
	global_load_dwordx4 v[40:43], v[8:9], off offset:1296
	global_load_dwordx4 v[60:63], v[10:11], off offset:3680
	;; [unrolled: 1-line block ×9, first 2 shown]
	v_addc_co_u32_e32 v129, vcc, 0, v9, vcc
	global_load_dwordx4 v[92:95], v[18:19], off offset:672
	global_load_dwordx4 v[8:11], v[18:19], off offset:1968
	;; [unrolled: 1-line block ×15, first 2 shown]
                                        ; kill: killed $vgpr22 killed $vgpr23
                                        ; kill: killed $vgpr20 killed $vgpr21
                                        ; kill: killed $vgpr18 killed $vgpr19
                                        ; kill: killed $vgpr28 killed $vgpr29
	global_load_dwordx4 v[16:19], v[124:125], off offset:1136
	global_load_dwordx4 v[72:75], v[126:127], off offset:2224
	s_nop 0
	global_load_dwordx4 v[28:31], v[126:127], off offset:928
	global_load_dwordx4 v[100:103], v[126:127], off offset:3520
                                        ; kill: killed $vgpr126 killed $vgpr127
                                        ; kill: killed $vgpr124 killed $vgpr125
	global_load_dwordx4 v[20:23], v[128:129], off offset:720
.LBB0_11:
	s_or_b64 exec, exec, s[4:5]
	s_waitcnt vmcnt(27)
	v_add_f64 v[124:125], v[60:61], v[48:49]
	v_add_f64 v[126:127], v[62:63], v[50:51]
	s_waitcnt vmcnt(11)
	v_add_f64 v[128:129], v[84:85], v[88:89]
	v_add_f64 v[132:133], v[60:61], -v[88:89]
	v_add_f64 v[134:135], v[88:89], -v[60:61]
	;; [unrolled: 1-line block ×4, first 2 shown]
	v_add_f64 v[136:137], v[86:87], v[90:91]
	v_add_f64 v[88:89], v[88:89], v[124:125]
	;; [unrolled: 1-line block ×3, first 2 shown]
	v_add_f64 v[126:127], v[62:63], -v[90:91]
	v_add_f64 v[140:141], v[90:91], -v[62:63]
	s_waitcnt vmcnt(7)
	v_add_f64 v[90:91], v[62:63], -v[82:83]
	v_add_f64 v[62:63], v[82:83], v[62:63]
	v_add_f64 v[146:147], v[82:83], -v[86:87]
	v_add_f64 v[148:149], v[86:87], -v[82:83]
	v_add_f64 v[88:89], v[84:85], v[88:89]
	v_add_f64 v[124:125], v[86:87], v[124:125]
	v_add_f64 v[86:87], v[64:65], v[44:45]
	v_add_f64 v[150:151], v[66:67], v[46:47]
	v_add_f64 v[142:143], v[80:81], v[60:61]
	v_add_f64 v[60:61], v[60:61], -v[80:81]
	v_add_f64 v[144:145], v[80:81], -v[84:85]
	;; [unrolled: 1-line block ×3, first 2 shown]
	v_add_f64 v[80:81], v[80:81], v[88:89]
	v_add_f64 v[124:125], v[82:83], v[124:125]
	v_fma_f64 v[82:83], v[128:129], -0.5, v[48:49]
	v_fma_f64 v[128:129], v[136:137], -0.5, v[50:51]
	;; [unrolled: 1-line block ×3, first 2 shown]
	v_add_f64 v[62:63], v[76:77], v[86:87]
	v_add_f64 v[86:87], v[78:79], v[150:151]
	;; [unrolled: 1-line block ×3, first 2 shown]
	v_fma_f64 v[48:49], v[142:143], -0.5, v[48:49]
	v_add_f64 v[136:137], v[78:79], -v[70:71]
	v_add_f64 v[142:143], v[64:65], -v[76:77]
	;; [unrolled: 1-line block ×3, first 2 shown]
	v_add_f64 v[152:153], v[70:71], v[78:79]
	v_add_f64 v[62:63], v[68:69], v[62:63]
	v_add_f64 v[76:77], v[76:77], -v[68:69]
	v_add_f64 v[154:155], v[66:67], -v[78:79]
	v_add_f64 v[78:79], v[78:79], -v[66:67]
	s_waitcnt vmcnt(3)
	v_add_f64 v[156:157], v[66:67], -v[74:75]
	v_add_f64 v[158:159], v[72:73], v[64:65]
	v_add_f64 v[86:87], v[70:71], v[86:87]
	v_add_f64 v[64:65], v[64:65], -v[72:73]
	v_add_f64 v[66:67], v[74:75], v[66:67]
	v_add_f64 v[160:161], v[72:73], -v[68:69]
	v_add_f64 v[68:69], v[68:69], -v[72:73]
	v_add_f64 v[62:63], v[72:73], v[62:63]
	v_fma_f64 v[72:73], v[88:89], -0.5, v[44:45]
	s_mov_b32 s12, 0x134454ff
	s_mov_b32 s13, 0xbfee6f0e
	;; [unrolled: 1-line block ×4, first 2 shown]
	v_add_f64 v[162:163], v[74:75], -v[70:71]
	v_add_f64 v[70:71], v[70:71], -v[74:75]
	v_add_f64 v[164:165], v[74:75], v[86:87]
	v_fma_f64 v[44:45], v[158:159], -0.5, v[44:45]
	v_fma_f64 v[74:75], v[152:153], -0.5, v[46:47]
	;; [unrolled: 1-line block ×3, first 2 shown]
	v_add_f64 v[66:67], v[144:145], v[132:133]
	v_fma_f64 v[86:87], v[90:91], s[12:13], v[82:83]
	v_fma_f64 v[82:83], v[90:91], s[4:5], v[82:83]
	;; [unrolled: 1-line block ×4, first 2 shown]
	s_mov_b32 s10, 0x4755a5e
	s_mov_b32 s11, 0xbfe2cf23
	;; [unrolled: 1-line block ×4, first 2 shown]
	v_fma_f64 v[88:89], v[130:131], s[4:5], v[48:49]
	v_fma_f64 v[48:49], v[130:131], s[12:13], v[48:49]
	;; [unrolled: 1-line block ×4, first 2 shown]
	v_add_f64 v[84:85], v[84:85], v[134:135]
	v_fma_f64 v[130:131], v[136:137], s[10:11], v[132:133]
	v_fma_f64 v[72:73], v[136:137], s[6:7], v[72:73]
	v_fma_f64 v[132:133], v[136:137], s[4:5], v[44:45]
	v_fma_f64 v[44:45], v[136:137], s[12:13], v[44:45]
	v_fma_f64 v[134:135], v[64:65], s[4:5], v[74:75]
	v_fma_f64 v[136:137], v[76:77], s[12:13], v[46:47]
	v_fma_f64 v[46:47], v[76:77], s[4:5], v[46:47]
	v_fma_f64 v[88:89], v[90:91], s[10:11], v[88:89]
	v_fma_f64 v[48:49], v[90:91], s[6:7], v[48:49]
	v_add_f64 v[90:91], v[160:161], v[142:143]
	v_add_f64 v[142:143], v[162:163], v[154:155]
	v_fma_f64 v[74:75], v[64:65], s[12:13], v[74:75]
	v_fma_f64 v[134:135], v[76:77], s[6:7], v[134:135]
	v_add_f64 v[70:71], v[70:71], v[78:79]
	v_fma_f64 v[78:79], v[64:65], s[6:7], v[136:137]
	v_fma_f64 v[46:47], v[64:65], s[10:11], v[46:47]
	s_mov_b32 s14, 0x372fe950
	s_mov_b32 s15, 0x3fd3c6ef
	v_add_f64 v[64:65], v[68:69], v[150:151]
	v_fma_f64 v[68:69], v[156:157], s[10:11], v[132:133]
	v_fma_f64 v[74:75], v[76:77], s[10:11], v[74:75]
	;; [unrolled: 1-line block ×7, first 2 shown]
	s_mov_b32 s16, 0x9b97f4a8
	v_fma_f64 v[136:137], v[64:65], s[14:15], v[68:69]
	v_fma_f64 v[74:75], v[142:143], s[14:15], v[74:75]
	v_mul_f64 v[68:69], v[132:133], s[10:11]
	v_mul_f64 v[70:71], v[134:135], s[12:13]
	v_fma_f64 v[44:45], v[64:65], s[14:15], v[44:45]
	v_mul_f64 v[64:65], v[46:47], s[12:13]
	s_mov_b32 s17, 0x3fe9e377
	s_mov_b32 s19, 0xbfd3c6ef
	;; [unrolled: 1-line block ×3, first 2 shown]
	v_fma_f64 v[86:87], v[66:67], s[14:15], v[86:87]
	v_fma_f64 v[66:67], v[66:67], s[14:15], v[82:83]
	;; [unrolled: 1-line block ×5, first 2 shown]
	v_mul_f64 v[76:77], v[74:75], s[10:11]
	v_fma_f64 v[78:79], v[130:131], s[16:17], v[68:69]
	v_fma_f64 v[84:85], v[136:137], s[14:15], v[70:71]
	;; [unrolled: 1-line block ×3, first 2 shown]
	s_mov_b32 s21, 0xbfe9e377
	s_mov_b32 s20, s16
	v_add_f64 v[68:69], v[62:63], v[80:81]
	v_mul_f64 v[46:47], v[46:47], s[18:19]
	v_fma_f64 v[142:143], v[72:73], s[20:21], v[76:77]
	v_add_f64 v[70:71], v[86:87], v[78:79]
	v_add_f64 v[76:77], v[86:87], -v[78:79]
	v_add_f64 v[78:79], v[82:83], -v[84:85]
	v_add_f64 v[88:89], v[82:83], v[84:85]
	v_add_f64 v[90:91], v[48:49], v[64:65]
	v_add_f64 v[82:83], v[80:81], -v[62:63]
	v_fma_f64 v[62:63], v[60:61], s[4:5], v[128:129]
	v_add_f64 v[84:85], v[48:49], -v[64:65]
	v_fma_f64 v[48:49], v[138:139], s[12:13], v[50:51]
	v_fma_f64 v[50:51], v[138:139], s[4:5], v[50:51]
	v_add_f64 v[80:81], v[66:67], v[142:143]
	v_add_f64 v[86:87], v[66:67], -v[142:143]
	v_fma_f64 v[64:65], v[60:61], s[12:13], v[128:129]
	v_add_f64 v[66:67], v[146:147], v[126:127]
	v_fma_f64 v[62:63], v[138:139], s[6:7], v[62:63]
	v_add_f64 v[126:127], v[148:149], v[140:141]
	v_mul_f64 v[128:129], v[130:131], s[6:7]
	v_fma_f64 v[48:49], v[60:61], s[6:7], v[48:49]
	v_mul_f64 v[130:131], v[136:137], s[4:5]
	v_fma_f64 v[50:51], v[60:61], s[10:11], v[50:51]
	v_fma_f64 v[64:65], v[138:139], s[10:11], v[64:65]
	v_mul_f64 v[60:61], v[74:75], s[20:21]
	v_fma_f64 v[62:63], v[66:67], s[14:15], v[62:63]
	v_add_f64 v[138:139], v[56:57], v[40:41]
	v_fma_f64 v[74:75], v[132:133], s[16:17], v[128:129]
	v_fma_f64 v[128:129], v[126:127], s[14:15], v[48:49]
	;; [unrolled: 1-line block ×5, first 2 shown]
	v_add_f64 v[140:141], v[58:59], v[42:43]
	v_fma_f64 v[132:133], v[66:67], s[14:15], v[64:65]
	v_fma_f64 v[136:137], v[72:73], s[6:7], v[60:61]
	v_add_f64 v[48:49], v[164:165], v[124:125]
	v_add_f64 v[50:51], v[62:63], v[74:75]
	v_add_f64 v[44:45], v[62:63], -v[74:75]
	v_add_f64 v[66:67], v[124:125], -v[164:165]
	v_add_f64 v[74:75], v[126:127], v[134:135]
	v_add_f64 v[60:61], v[126:127], -v[134:135]
	v_add_f64 v[124:125], v[116:117], v[138:139]
	v_add_f64 v[126:127], v[118:119], v[140:141]
	v_add_f64 v[46:47], v[128:129], -v[130:131]
	v_add_f64 v[72:73], v[128:129], v[130:131]
	;; [unrolled: 3-line block ×3, first 2 shown]
	v_add_f64 v[130:131], v[118:119], -v[114:115]
	v_add_f64 v[132:133], v[56:57], -v[116:117]
	;; [unrolled: 1-line block ×3, first 2 shown]
	v_add_f64 v[136:137], v[114:115], v[118:119]
	v_add_f64 v[138:139], v[58:59], -v[118:119]
	v_add_f64 v[118:119], v[118:119], -v[58:59]
	;; [unrolled: 1-line block ×3, first 2 shown]
	v_add_f64 v[142:143], v[108:109], v[56:57]
	v_add_f64 v[144:145], v[56:57], -v[108:109]
	v_add_f64 v[56:57], v[110:111], v[58:59]
	v_add_f64 v[58:59], v[112:113], v[124:125]
	;; [unrolled: 1-line block ×5, first 2 shown]
	v_add_f64 v[116:117], v[116:117], -v[112:113]
	v_add_f64 v[126:127], v[108:109], -v[112:113]
	v_add_f64 v[112:113], v[112:113], -v[108:109]
	v_add_f64 v[146:147], v[110:111], -v[114:115]
	v_add_f64 v[114:115], v[114:115], -v[110:111]
	v_add_f64 v[108:109], v[108:109], v[58:59]
	v_add_f64 v[124:125], v[110:111], v[124:125]
	v_fma_f64 v[58:59], v[128:129], -0.5, v[40:41]
	v_fma_f64 v[110:111], v[136:137], -0.5, v[42:43]
	;; [unrolled: 1-line block ×3, first 2 shown]
	v_add_f64 v[42:43], v[104:105], v[148:149]
	v_add_f64 v[56:57], v[106:107], v[150:151]
	v_fma_f64 v[40:41], v[142:143], -0.5, v[40:41]
	v_add_f64 v[136:137], v[96:97], v[104:105]
	v_add_f64 v[142:143], v[106:107], -v[98:99]
	v_add_f64 v[152:153], v[98:99], v[106:107]
	v_add_f64 v[154:155], v[94:95], -v[106:107]
	v_add_f64 v[106:107], v[106:107], -v[94:95]
	s_waitcnt vmcnt(1)
	v_add_f64 v[156:157], v[94:95], -v[102:103]
	v_add_f64 v[42:43], v[96:97], v[42:43]
	v_add_f64 v[56:57], v[98:99], v[56:57]
	;; [unrolled: 1-line block ×3, first 2 shown]
	v_add_f64 v[148:149], v[92:93], -v[104:105]
	v_add_f64 v[150:151], v[104:105], -v[92:93]
	;; [unrolled: 1-line block ×3, first 2 shown]
	v_add_f64 v[158:159], v[100:101], v[92:93]
	v_add_f64 v[92:93], v[92:93], -v[100:101]
	v_add_f64 v[160:161], v[100:101], -v[96:97]
	;; [unrolled: 1-line block ×3, first 2 shown]
	v_add_f64 v[100:101], v[100:101], v[42:43]
	v_add_f64 v[164:165], v[102:103], v[56:57]
	v_fma_f64 v[42:43], v[136:137], -0.5, v[52:53]
	v_fma_f64 v[56:57], v[140:141], s[12:13], v[58:59]
	v_fma_f64 v[58:59], v[140:141], s[4:5], v[58:59]
	v_fma_f64 v[136:137], v[152:153], -0.5, v[54:55]
	v_fma_f64 v[54:55], v[94:95], -0.5, v[54:55]
	v_add_f64 v[162:163], v[102:103], -v[98:99]
	v_add_f64 v[98:99], v[98:99], -v[102:103]
	v_fma_f64 v[52:53], v[158:159], -0.5, v[52:53]
	v_fma_f64 v[102:103], v[130:131], s[4:5], v[40:41]
	v_fma_f64 v[40:41], v[130:131], s[12:13], v[40:41]
	;; [unrolled: 1-line block ×4, first 2 shown]
	v_add_f64 v[112:113], v[112:113], v[134:135]
	v_fma_f64 v[130:131], v[92:93], s[4:5], v[136:137]
	v_fma_f64 v[134:135], v[104:105], s[12:13], v[54:55]
	;; [unrolled: 1-line block ×4, first 2 shown]
	v_add_f64 v[94:95], v[126:127], v[132:133]
	v_fma_f64 v[102:103], v[140:141], s[10:11], v[102:103]
	v_fma_f64 v[40:41], v[140:141], s[6:7], v[40:41]
	v_add_f64 v[126:127], v[160:161], v[148:149]
	v_fma_f64 v[132:133], v[156:157], s[12:13], v[42:43]
	v_fma_f64 v[42:43], v[156:157], s[4:5], v[42:43]
	;; [unrolled: 1-line block ×3, first 2 shown]
	v_add_f64 v[148:149], v[162:163], v[154:155]
	v_fma_f64 v[130:131], v[104:105], s[6:7], v[130:131]
	v_add_f64 v[98:99], v[98:99], v[106:107]
	v_fma_f64 v[106:107], v[92:93], s[6:7], v[134:135]
	v_fma_f64 v[52:53], v[142:143], s[12:13], v[52:53]
	;; [unrolled: 1-line block ×5, first 2 shown]
	v_add_f64 v[96:97], v[96:97], v[150:151]
	v_fma_f64 v[130:131], v[148:149], s[14:15], v[130:131]
	v_fma_f64 v[132:133], v[156:157], s[10:11], v[140:141]
	v_fma_f64 v[134:135], v[98:99], s[14:15], v[106:107]
	v_fma_f64 v[52:53], v[156:157], s[6:7], v[52:53]
	v_fma_f64 v[98:99], v[98:99], s[14:15], v[54:55]
	v_fma_f64 v[42:43], v[142:143], s[6:7], v[42:43]
	v_fma_f64 v[136:137], v[148:149], s[14:15], v[104:105]
	v_fma_f64 v[92:93], v[126:127], s[14:15], v[92:93]
	v_mul_f64 v[54:55], v[130:131], s[10:11]
	v_fma_f64 v[132:133], v[96:97], s[14:15], v[132:133]
	v_mul_f64 v[104:105], v[134:135], s[12:13]
	v_fma_f64 v[96:97], v[96:97], s[14:15], v[52:53]
	;; [unrolled: 2-line block ×4, first 2 shown]
	v_fma_f64 v[54:55], v[92:93], s[16:17], v[54:55]
	v_fma_f64 v[102:103], v[112:113], s[14:15], v[102:103]
	;; [unrolled: 1-line block ×7, first 2 shown]
	v_add_f64 v[40:41], v[100:101], v[108:109]
	v_add_f64 v[42:43], v[56:57], v[54:55]
	v_add_f64 v[52:53], v[56:57], -v[54:55]
	v_add_f64 v[54:55], v[102:103], -v[104:105]
	v_add_f64 v[56:57], v[102:103], v[104:105]
	v_add_f64 v[58:59], v[106:107], v[112:113]
	v_add_f64 v[102:103], v[108:109], -v[100:101]
	v_fma_f64 v[108:109], v[144:145], s[4:5], v[110:111]
	v_add_f64 v[100:101], v[94:95], v[140:141]
	v_add_f64 v[104:105], v[106:107], -v[112:113]
	v_fma_f64 v[112:113], v[116:117], s[12:13], v[128:129]
	v_add_f64 v[106:107], v[94:95], -v[140:141]
	v_fma_f64 v[94:95], v[144:145], s[12:13], v[110:111]
	v_fma_f64 v[110:111], v[116:117], s[4:5], v[128:129]
	v_add_f64 v[128:129], v[146:147], v[138:139]
	v_fma_f64 v[108:109], v[116:117], s[6:7], v[108:109]
	v_add_f64 v[114:115], v[114:115], v[118:119]
	v_mul_f64 v[92:93], v[92:93], s[6:7]
	v_fma_f64 v[112:113], v[144:145], s[6:7], v[112:113]
	v_mul_f64 v[118:119], v[132:133], s[4:5]
	v_fma_f64 v[94:95], v[116:117], s[10:11], v[94:95]
	v_fma_f64 v[110:111], v[144:145], s[10:11], v[110:111]
	v_mul_f64 v[98:99], v[98:99], s[18:19]
	v_mul_f64 v[116:117], v[136:137], s[20:21]
	v_fma_f64 v[108:109], v[128:129], s[14:15], v[108:109]
	v_fma_f64 v[92:93], v[130:131], s[16:17], v[92:93]
	;; [unrolled: 1-line block ×4, first 2 shown]
	v_add_f64 v[132:133], v[14:15], v[6:7]
	v_fma_f64 v[114:115], v[114:115], s[14:15], v[110:111]
	v_fma_f64 v[130:131], v[96:97], s[4:5], v[98:99]
	;; [unrolled: 1-line block ×3, first 2 shown]
	v_add_f64 v[126:127], v[12:13], v[4:5]
	v_fma_f64 v[128:129], v[128:129], s[14:15], v[94:95]
	v_add_f64 v[98:99], v[108:109], v[92:93]
	v_add_f64 v[92:93], v[108:109], -v[92:93]
	v_add_f64 v[94:95], v[112:113], -v[118:119]
	v_add_f64 v[108:109], v[112:113], v[118:119]
	v_add_f64 v[110:111], v[114:115], v[130:131]
	v_add_f64 v[138:139], v[114:115], -v[130:131]
	v_add_f64 v[112:113], v[36:37], v[126:127]
	v_add_f64 v[114:115], v[38:39], v[132:133]
	;; [unrolled: 1-line block ×3, first 2 shown]
	v_add_f64 v[136:137], v[124:125], -v[164:165]
	v_add_f64 v[134:135], v[128:129], v[116:117]
	v_add_f64 v[140:141], v[128:129], -v[116:117]
	v_add_f64 v[116:117], v[32:33], v[36:37]
	v_add_f64 v[118:119], v[38:39], -v[34:35]
	v_add_f64 v[124:125], v[12:13], -v[36:37]
	;; [unrolled: 1-line block ×3, first 2 shown]
	v_add_f64 v[128:129], v[34:35], v[38:39]
	v_add_f64 v[130:131], v[14:15], -v[38:39]
	v_add_f64 v[38:39], v[38:39], -v[14:15]
	v_add_f64 v[132:133], v[14:15], -v[30:31]
	v_add_f64 v[142:143], v[28:29], v[12:13]
	v_add_f64 v[144:145], v[12:13], -v[28:29]
	v_add_f64 v[12:13], v[30:31], v[14:15]
	v_add_f64 v[14:15], v[32:33], v[112:113]
	;; [unrolled: 1-line block ×5, first 2 shown]
	v_add_f64 v[36:37], v[36:37], -v[32:33]
	v_add_f64 v[114:115], v[28:29], -v[32:33]
	;; [unrolled: 1-line block ×5, first 2 shown]
	v_add_f64 v[14:15], v[28:29], v[14:15]
	v_add_f64 v[28:29], v[30:31], v[112:113]
	v_fma_f64 v[30:31], v[116:117], -0.5, v[4:5]
	v_fma_f64 v[112:113], v[128:129], -0.5, v[6:7]
	;; [unrolled: 1-line block ×3, first 2 shown]
	v_add_f64 v[6:7], v[24:25], v[148:149]
	v_add_f64 v[12:13], v[26:27], v[150:151]
	v_fma_f64 v[4:5], v[142:143], -0.5, v[4:5]
	v_add_f64 v[128:129], v[16:17], v[24:25]
	v_add_f64 v[142:143], v[26:27], -v[18:19]
	v_add_f64 v[152:153], v[18:19], v[26:27]
	v_add_f64 v[154:155], v[10:11], -v[26:27]
	v_add_f64 v[26:27], v[26:27], -v[10:11]
	s_waitcnt vmcnt(0)
	v_add_f64 v[156:157], v[10:11], -v[22:23]
	v_add_f64 v[6:7], v[16:17], v[6:7]
	v_add_f64 v[12:13], v[18:19], v[12:13]
	;; [unrolled: 1-line block ×3, first 2 shown]
	v_add_f64 v[148:149], v[8:9], -v[24:25]
	v_add_f64 v[150:151], v[24:25], -v[8:9]
	;; [unrolled: 1-line block ×3, first 2 shown]
	v_add_f64 v[158:159], v[20:21], v[8:9]
	v_add_f64 v[8:9], v[8:9], -v[20:21]
	v_add_f64 v[160:161], v[20:21], -v[16:17]
	;; [unrolled: 1-line block ×5, first 2 shown]
	v_add_f64 v[20:21], v[20:21], v[6:7]
	v_add_f64 v[22:23], v[22:23], v[12:13]
	v_fma_f64 v[6:7], v[128:129], -0.5, v[0:1]
	v_fma_f64 v[12:13], v[132:133], s[12:13], v[30:31]
	v_fma_f64 v[30:31], v[132:133], s[4:5], v[30:31]
	;; [unrolled: 1-line block ×3, first 2 shown]
	v_fma_f64 v[152:153], v[152:153], -0.5, v[2:3]
	v_fma_f64 v[2:3], v[10:11], -0.5, v[2:3]
	;; [unrolled: 1-line block ×3, first 2 shown]
	v_fma_f64 v[4:5], v[118:119], s[12:13], v[4:5]
	v_add_f64 v[10:11], v[114:115], v[124:125]
	v_fma_f64 v[12:13], v[118:119], s[10:11], v[12:13]
	v_fma_f64 v[30:31], v[118:119], s[6:7], v[30:31]
	v_fma_f64 v[114:115], v[132:133], s[10:11], v[128:129]
	v_add_f64 v[118:119], v[160:161], v[148:149]
	v_fma_f64 v[124:125], v[8:9], s[4:5], v[152:153]
	v_fma_f64 v[128:129], v[24:25], s[12:13], v[2:3]
	v_fma_f64 v[2:3], v[24:25], s[4:5], v[2:3]
	v_fma_f64 v[148:149], v[8:9], s[12:13], v[152:153]
	v_add_f64 v[32:33], v[32:33], v[126:127]
	v_fma_f64 v[4:5], v[132:133], s[6:7], v[4:5]
	;; [unrolled: 5-line block ×3, first 2 shown]
	v_add_f64 v[18:19], v[18:19], v[26:27]
	v_fma_f64 v[26:27], v[8:9], s[6:7], v[128:129]
	v_fma_f64 v[0:1], v[142:143], s[12:13], v[0:1]
	;; [unrolled: 1-line block ×5, first 2 shown]
	v_add_f64 v[16:17], v[16:17], v[150:151]
	v_fma_f64 v[124:125], v[152:153], s[14:15], v[124:125]
	v_fma_f64 v[126:127], v[156:157], s[10:11], v[132:133]
	;; [unrolled: 1-line block ×8, first 2 shown]
	v_mul_f64 v[6:7], v[124:125], s[10:11]
	v_fma_f64 v[126:127], v[16:17], s[14:15], v[126:127]
	v_mul_f64 v[8:9], v[26:27], s[12:13]
	v_fma_f64 v[142:143], v[16:17], s[14:15], v[0:1]
	;; [unrolled: 2-line block ×4, first 2 shown]
	v_fma_f64 v[6:7], v[132:133], s[16:17], v[6:7]
	v_fma_f64 v[16:17], v[32:33], s[14:15], v[114:115]
	;; [unrolled: 1-line block ×7, first 2 shown]
	v_add_f64 v[0:1], v[20:21], v[14:15]
	v_add_f64 v[14:15], v[14:15], -v[20:21]
	v_fma_f64 v[20:21], v[144:145], s[4:5], v[112:113]
	v_add_f64 v[2:3], v[12:13], v[6:7]
	v_add_f64 v[4:5], v[12:13], -v[6:7]
	v_add_f64 v[6:7], v[16:17], -v[8:9]
	v_add_f64 v[8:9], v[16:17], v[8:9]
	v_add_f64 v[10:11], v[18:19], v[32:33]
	;; [unrolled: 1-line block ×3, first 2 shown]
	v_add_f64 v[16:17], v[18:19], -v[32:33]
	v_fma_f64 v[32:33], v[36:37], s[12:13], v[116:117]
	v_add_f64 v[18:19], v[30:31], -v[114:115]
	v_fma_f64 v[30:31], v[36:37], s[4:5], v[116:117]
	v_fma_f64 v[112:113], v[144:145], s[12:13], v[112:113]
	v_add_f64 v[114:115], v[146:147], v[130:131]
	v_fma_f64 v[20:21], v[36:37], s[6:7], v[20:21]
	v_add_f64 v[34:35], v[34:35], v[38:39]
	v_mul_f64 v[38:39], v[132:133], s[6:7]
	v_fma_f64 v[32:33], v[144:145], s[6:7], v[32:33]
	v_mul_f64 v[116:117], v[126:127], s[4:5]
	v_fma_f64 v[30:31], v[144:145], s[10:11], v[30:31]
	;; [unrolled: 2-line block ×4, first 2 shown]
	v_fma_f64 v[38:39], v[124:125], s[16:17], v[38:39]
	v_fma_f64 v[32:33], v[34:35], s[14:15], v[32:33]
	;; [unrolled: 1-line block ×7, first 2 shown]
	s_movk_i32 s4, 0xffb8
	v_add_f64 v[144:145], v[20:21], v[38:39]
	v_add_f64 v[146:147], v[20:21], -v[38:39]
	v_mul_u32_u24_e32 v20, 10, v120
	v_lshl_add_u32 v117, v20, 3, 0
	v_mad_i32_i24 v112, v120, s4, v117
	v_add_u32_e32 v113, 0x1800, v112
	v_add_u32_e32 v114, 0x3000, v112
	;; [unrolled: 1-line block ×9, first 2 shown]
	s_movk_i32 s4, 0xcd
	v_add_f64 v[142:143], v[22:23], v[28:29]
	v_add_f64 v[148:149], v[32:33], -v[26:27]
	v_add_f64 v[150:151], v[32:33], v[26:27]
	v_add_f64 v[152:153], v[30:31], v[34:35]
	v_add_f64 v[156:157], v[28:29], -v[22:23]
	v_add_f64 v[154:155], v[36:37], v[24:25]
	v_add_f64 v[158:159], v[30:31], -v[34:35]
	v_add_f64 v[160:161], v[36:37], -v[24:25]
	ds_write_b128 v117, v[68:71]
	ds_write_b128 v117, v[88:91] offset:16
	ds_write_b128 v117, v[80:83] offset:32
	;; [unrolled: 1-line block ×14, first 2 shown]
	s_waitcnt lgkmcnt(0)
	s_barrier
	ds_read2_b64 v[16:19], v112 offset1:81
	ds_read2_b64 v[76:79], v113 offset0:42 offset1:123
	ds_read2_b64 v[68:71], v114 offset0:84 offset1:165
	ds_read2_b64 v[12:15], v112 offset0:162 offset1:243
	ds_read2_b64 v[56:59], v116 offset0:76 offset1:157
	ds_read2_b64 v[52:55], v115 offset0:118 offset1:199
	ds_read2_b64 v[8:11], v121 offset0:68 offset1:149
	ds_read2_b64 v[36:39], v125 offset0:110 offset1:191
	ds_read2_b64 v[28:31], v126 offset0:152 offset1:233
	ds_read2_b64 v[4:7], v127 offset0:102 offset1:183
	v_add_u32_e32 v130, 0x4000, v112
	v_add_u32_e32 v131, 0x1000, v112
	;; [unrolled: 1-line block ×4, first 2 shown]
	ds_read2_b64 v[40:43], v129 offset0:16 offset1:97
	ds_read2_b64 v[32:35], v130 offset0:58 offset1:139
	ds_read2_b64 v[0:3], v131 offset0:136 offset1:217
	ds_read2_b64 v[24:27], v132 offset0:50 offset1:131
	ds_read2_b64 v[20:23], v133 offset0:92 offset1:173
	s_waitcnt lgkmcnt(0)
	s_barrier
	ds_write_b128 v117, v[48:51]
	ds_write_b128 v117, v[72:75] offset:16
	ds_write_b128 v117, v[64:67] offset:32
	;; [unrolled: 1-line block ×14, first 2 shown]
	v_mul_lo_u16_sdwa v44, v120, s4 dst_sel:DWORD dst_unused:UNUSED_PAD src0_sel:BYTE_0 src1_sel:DWORD
	v_lshrrev_b16_e32 v49, 11, v44
	v_mul_lo_u16_e32 v44, 10, v49
	v_sub_u16_e32 v48, v120, v44
	v_mov_b32_e32 v106, 5
	v_lshlrev_b32_sdwa v44, v106, v48 dst_sel:DWORD dst_unused:UNUSED_PAD src0_sel:DWORD src1_sel:BYTE_0
	s_waitcnt lgkmcnt(0)
	s_barrier
	global_load_dwordx4 v[60:63], v44, s[8:9]
	v_add_u32_e32 v136, 0x51, v120
	v_mul_lo_u16_sdwa v45, v136, s4 dst_sel:DWORD dst_unused:UNUSED_PAD src0_sel:BYTE_0 src1_sel:DWORD
	v_lshrrev_b16_e32 v46, 11, v45
	v_mul_lo_u16_e32 v45, 10, v46
	v_sub_u16_e32 v47, v136, v45
	v_lshlrev_b32_sdwa v45, v106, v47 dst_sel:DWORD dst_unused:UNUSED_PAD src0_sel:DWORD src1_sel:BYTE_0
	global_load_dwordx4 v[64:67], v45, s[8:9]
	global_load_dwordx4 v[72:75], v44, s[8:9] offset:16
	global_load_dwordx4 v[80:83], v45, s[8:9] offset:16
	v_add_u32_e32 v137, 0xa2, v120
	v_mul_lo_u16_sdwa v44, v137, s4 dst_sel:DWORD dst_unused:UNUSED_PAD src0_sel:BYTE_0 src1_sel:DWORD
	v_lshrrev_b16_e32 v107, 11, v44
	v_mul_lo_u16_e32 v44, 10, v107
	v_sub_u16_e32 v108, v137, v44
	v_lshlrev_b32_sdwa v44, v106, v108 dst_sel:DWORD dst_unused:UNUSED_PAD src0_sel:DWORD src1_sel:BYTE_0
	global_load_dwordx4 v[84:87], v44, s[8:9]
	v_add_u32_e32 v128, 0xf3, v120
	s_mov_b32 s4, 0xcccd
	v_mul_u32_u24_sdwa v45, v128, s4 dst_sel:DWORD dst_unused:UNUSED_PAD src0_sel:WORD_0 src1_sel:DWORD
	v_lshrrev_b32_e32 v50, 19, v45
	v_mul_lo_u16_e32 v45, 10, v50
	v_sub_u16_e32 v51, v128, v45
	v_lshlrev_b32_e32 v45, 5, v51
	global_load_dwordx4 v[94:97], v45, s[8:9]
	global_load_dwordx4 v[100:103], v44, s[8:9] offset:16
	global_load_dwordx4 v[148:151], v45, s[8:9] offset:16
	v_add_u32_e32 v134, 0x144, v120
	v_mul_u32_u24_sdwa v44, v134, s4 dst_sel:DWORD dst_unused:UNUSED_PAD src0_sel:WORD_0 src1_sel:DWORD
	v_lshrrev_b32_e32 v111, 19, v44
	v_add_u32_e32 v117, 0x195, v120
	v_mul_lo_u16_e32 v44, 10, v111
	v_mul_u32_u24_sdwa v45, v117, s4 dst_sel:DWORD dst_unused:UNUSED_PAD src0_sel:WORD_0 src1_sel:DWORD
	v_sub_u16_e32 v139, v134, v44
	v_lshrrev_b32_e32 v109, 19, v45
	v_lshlrev_b32_e32 v44, 5, v139
	v_mul_lo_u16_e32 v45, 10, v109
	global_load_dwordx4 v[152:155], v44, s[8:9]
	v_sub_u16_e32 v110, v117, v45
	v_lshlrev_b32_e32 v45, 5, v110
	global_load_dwordx4 v[156:159], v45, s[8:9]
	global_load_dwordx4 v[160:163], v44, s[8:9] offset:16
	global_load_dwordx4 v[164:167], v45, s[8:9] offset:16
	v_add_u32_e32 v118, 0x1e6, v120
	v_add_u32_e32 v135, 0x237, v120
	v_mul_u32_u24_sdwa v44, v118, s4 dst_sel:DWORD dst_unused:UNUSED_PAD src0_sel:WORD_0 src1_sel:DWORD
	v_mul_u32_u24_sdwa v45, v135, s4 dst_sel:DWORD dst_unused:UNUSED_PAD src0_sel:WORD_0 src1_sel:DWORD
	v_lshrrev_b32_e32 v142, 19, v44
	v_lshrrev_b32_e32 v141, 19, v45
	v_mul_lo_u16_e32 v44, 10, v142
	v_mul_lo_u16_e32 v45, 10, v141
	v_sub_u16_e32 v143, v118, v44
	v_sub_u16_e32 v140, v135, v45
	v_lshlrev_b32_e32 v44, 5, v143
	v_lshlrev_b32_e32 v45, 5, v140
	global_load_dwordx4 v[168:171], v44, s[8:9]
	global_load_dwordx4 v[172:175], v45, s[8:9]
	v_add_u32_e32 v124, 0x288, v120
	ds_read2_b64 v[90:93], v113 offset0:42 offset1:123
	global_load_dwordx4 v[176:179], v44, s[8:9] offset:16
	global_load_dwordx4 v[180:183], v45, s[8:9] offset:16
	v_mul_u32_u24_sdwa v44, v124, s4 dst_sel:DWORD dst_unused:UNUSED_PAD src0_sel:WORD_0 src1_sel:DWORD
	v_lshrrev_b32_e32 v145, 19, v44
	v_mul_lo_u16_e32 v44, 10, v145
	v_add_u32_e32 v119, 0x2d9, v120
	v_sub_u16_e32 v144, v124, v44
	v_mul_u32_u24_sdwa v44, v119, s4 dst_sel:DWORD dst_unused:UNUSED_PAD src0_sel:WORD_0 src1_sel:DWORD
	v_lshrrev_b32_e32 v146, 19, v44
	v_mul_lo_u16_e32 v44, 10, v146
	v_sub_u16_e32 v147, v119, v44
	v_lshlrev_b32_e32 v88, 5, v144
	v_lshlrev_b32_e32 v89, 5, v147
	global_load_dwordx4 v[184:187], v88, s[8:9]
	global_load_dwordx4 v[188:191], v89, s[8:9]
	global_load_dwordx4 v[192:195], v88, s[8:9] offset:16
	global_load_dwordx4 v[196:199], v89, s[8:9] offset:16
	ds_read2_b64 v[200:203], v114 offset0:84 offset1:165
	s_mov_b32 s4, 0xe8584caa
	v_mov_b32_e32 v138, 3
	s_mov_b32 s5, 0xbfebb67a
	s_mov_b32 s7, 0x3febb67a
	;; [unrolled: 1-line block ×3, first 2 shown]
	v_mul_u32_u24_e32 v46, 0xf0, v46
	v_lshlrev_b32_sdwa v47, v138, v47 dst_sel:DWORD dst_unused:UNUSED_PAD src0_sel:DWORD src1_sel:BYTE_0
	s_movk_i32 s10, 0x89
	s_movk_i32 s11, 0x1040
	;; [unrolled: 1-line block ×4, first 2 shown]
	s_waitcnt vmcnt(19) lgkmcnt(1)
	v_mul_f64 v[44:45], v[90:91], v[62:63]
	v_mul_f64 v[62:63], v[76:77], v[62:63]
	s_waitcnt vmcnt(18)
	v_mul_f64 v[88:89], v[92:93], v[66:67]
	v_mul_f64 v[66:67], v[78:79], v[66:67]
	s_waitcnt vmcnt(16) lgkmcnt(0)
	v_mul_f64 v[98:99], v[202:203], v[82:83]
	v_fma_f64 v[44:45], v[76:77], v[60:61], v[44:45]
	v_mul_f64 v[76:77], v[200:201], v[74:75]
	v_fma_f64 v[204:205], v[90:91], v[60:61], -v[62:63]
	ds_read2_b64 v[60:63], v116 offset0:76 offset1:157
	v_mul_f64 v[74:75], v[68:69], v[74:75]
	v_mul_f64 v[82:83], v[70:71], v[82:83]
	v_fma_f64 v[90:91], v[78:79], v[64:65], v[88:89]
	v_fma_f64 v[206:207], v[92:93], v[64:65], -v[66:67]
	s_waitcnt vmcnt(15) lgkmcnt(0)
	v_mul_f64 v[88:89], v[60:61], v[86:87]
	v_fma_f64 v[208:209], v[68:69], v[72:73], v[76:77]
	v_mul_f64 v[68:69], v[56:57], v[86:87]
	ds_read2_b64 v[64:67], v115 offset0:118 offset1:199
	v_fma_f64 v[200:201], v[200:201], v[72:73], -v[74:75]
	v_fma_f64 v[78:79], v[202:203], v[80:81], -v[82:83]
	ds_read2_b64 v[72:75], v125 offset0:110 offset1:191
	v_fma_f64 v[98:99], v[70:71], v[80:81], v[98:99]
	v_fma_f64 v[92:93], v[56:57], v[84:85], v[88:89]
	s_waitcnt vmcnt(14)
	v_mul_f64 v[56:57], v[62:63], v[96:97]
	v_fma_f64 v[202:203], v[60:61], v[84:85], -v[68:69]
	s_waitcnt vmcnt(13) lgkmcnt(1)
	v_mul_f64 v[60:61], v[64:65], v[102:103]
	v_mul_f64 v[70:71], v[58:59], v[96:97]
	s_waitcnt vmcnt(12)
	v_mul_f64 v[76:77], v[66:67], v[150:151]
	v_mul_f64 v[82:83], v[54:55], v[150:151]
	;; [unrolled: 1-line block ×3, first 2 shown]
	v_fma_f64 v[80:81], v[58:59], v[94:95], v[56:57]
	s_waitcnt vmcnt(11) lgkmcnt(0)
	v_mul_f64 v[56:57], v[72:73], v[154:155]
	v_fma_f64 v[104:105], v[52:53], v[100:101], v[60:61]
	s_waitcnt vmcnt(10)
	v_mul_f64 v[60:61], v[74:75], v[158:159]
	v_mul_f64 v[58:59], v[36:37], v[154:155]
	v_fma_f64 v[150:151], v[62:63], v[94:95], -v[70:71]
	v_fma_f64 v[94:95], v[54:55], v[148:149], v[76:77]
	ds_read2_b64 v[52:55], v126 offset0:152 offset1:233
	v_fma_f64 v[70:71], v[66:67], v[148:149], -v[82:83]
	v_fma_f64 v[84:85], v[36:37], v[152:153], v[56:57]
	v_mul_f64 v[36:37], v[38:39], v[158:159]
	v_fma_f64 v[82:83], v[38:39], v[156:157], v[60:61]
	s_waitcnt vmcnt(8)
	v_mul_f64 v[38:39], v[30:31], v[166:167]
	v_fma_f64 v[148:149], v[72:73], v[152:153], -v[58:59]
	s_waitcnt lgkmcnt(0)
	v_mul_f64 v[62:63], v[52:53], v[162:163]
	ds_read2_b64 v[56:59], v129 offset0:16 offset1:97
	v_mul_f64 v[66:67], v[54:55], v[166:167]
	v_fma_f64 v[100:101], v[64:65], v[100:101], -v[68:69]
	v_mul_f64 v[64:65], v[28:29], v[162:163]
	v_fma_f64 v[152:153], v[74:75], v[156:157], -v[36:37]
	s_waitcnt vmcnt(7) lgkmcnt(0)
	v_mul_f64 v[36:37], v[56:57], v[170:171]
	v_fma_f64 v[88:89], v[54:55], v[164:165], -v[38:39]
	s_waitcnt vmcnt(6)
	v_mul_f64 v[54:55], v[58:59], v[174:175]
	v_fma_f64 v[102:103], v[28:29], v[160:161], v[62:63]
	v_fma_f64 v[96:97], v[30:31], v[164:165], v[66:67]
	ds_read2_b64 v[28:31], v130 offset0:58 offset1:139
	v_fma_f64 v[86:87], v[52:53], v[160:161], -v[64:65]
	v_mul_f64 v[52:53], v[40:41], v[170:171]
	v_fma_f64 v[60:61], v[40:41], v[168:169], v[36:37]
	v_mul_f64 v[40:41], v[42:43], v[174:175]
	s_waitcnt vmcnt(5) lgkmcnt(0)
	v_mul_f64 v[64:65], v[28:29], v[178:179]
	v_fma_f64 v[62:63], v[42:43], v[172:173], v[54:55]
	s_waitcnt vmcnt(4)
	v_mul_f64 v[42:43], v[34:35], v[182:183]
	v_mul_f64 v[68:69], v[30:31], v[182:183]
	ds_read2_b64 v[36:39], v132 offset0:50 offset1:131
	v_fma_f64 v[52:53], v[56:57], v[168:169], -v[52:53]
	v_mul_f64 v[56:57], v[32:33], v[178:179]
	v_fma_f64 v[40:41], v[58:59], v[172:173], -v[40:41]
	v_fma_f64 v[72:73], v[32:33], v[176:177], v[64:65]
	s_waitcnt vmcnt(3) lgkmcnt(0)
	v_mul_f64 v[54:55], v[36:37], v[186:187]
	v_fma_f64 v[64:65], v[30:31], v[180:181], -v[42:43]
	s_waitcnt vmcnt(2)
	v_mul_f64 v[30:31], v[38:39], v[190:191]
	v_fma_f64 v[68:69], v[34:35], v[180:181], v[68:69]
	ds_read2_b64 v[32:35], v133 offset0:92 offset1:173
	v_fma_f64 v[66:67], v[28:29], v[176:177], -v[56:57]
	v_mul_f64 v[28:29], v[24:25], v[186:187]
	v_mul_f64 v[42:43], v[26:27], v[190:191]
	v_fma_f64 v[74:75], v[24:25], v[184:185], v[54:55]
	s_waitcnt vmcnt(1) lgkmcnt(0)
	v_mul_f64 v[24:25], v[32:33], v[194:195]
	v_mul_f64 v[54:55], v[20:21], v[194:195]
	v_fma_f64 v[76:77], v[26:27], v[188:189], v[30:31]
	v_add_f64 v[26:27], v[44:45], v[208:209]
	s_waitcnt vmcnt(0)
	v_mul_f64 v[56:57], v[34:35], v[198:199]
	v_fma_f64 v[58:59], v[36:37], v[184:185], -v[28:29]
	v_mul_f64 v[28:29], v[22:23], v[198:199]
	v_add_f64 v[162:163], v[90:91], v[98:99]
	v_fma_f64 v[154:155], v[20:21], v[192:193], v[24:25]
	v_fma_f64 v[156:157], v[32:33], v[192:193], -v[54:55]
	v_add_f64 v[20:21], v[16:17], v[44:45]
	v_fma_f64 v[16:17], v[26:27], -0.5, v[16:17]
	v_add_f64 v[54:55], v[204:205], -v[200:201]
	v_fma_f64 v[158:159], v[22:23], v[196:197], v[56:57]
	v_mul_u32_u24_e32 v22, 0xf0, v49
	v_lshlrev_b32_sdwa v23, v138, v48 dst_sel:DWORD dst_unused:UNUSED_PAD src0_sel:DWORD src1_sel:BYTE_0
	v_add3_u32 v186, 0, v22, v23
	v_fma_f64 v[42:43], v[38:39], v[188:189], -v[42:43]
	v_add_f64 v[48:49], v[20:21], v[208:209]
	v_fma_f64 v[160:161], v[34:35], v[196:197], -v[28:29]
	v_fma_f64 v[56:57], v[54:55], s[4:5], v[16:17]
	ds_read2_b64 v[20:23], v112 offset1:81
	ds_read2_b64 v[24:27], v112 offset0:162 offset1:243
	ds_read2_b64 v[28:31], v121 offset0:68 offset1:149
	ds_read2_b64 v[32:35], v127 offset0:102 offset1:183
	ds_read2_b64 v[36:39], v131 offset0:136 offset1:217
	s_waitcnt lgkmcnt(0)
	s_barrier
	v_fma_f64 v[16:17], v[54:55], s[6:7], v[16:17]
	v_fma_f64 v[54:55], v[162:163], -0.5, v[18:19]
	ds_write2_b64 v186, v[48:49], v[56:57] offset1:10
	v_add_f64 v[48:49], v[204:205], v[200:201]
	v_add_f64 v[56:57], v[206:207], v[78:79]
	;; [unrolled: 1-line block ×4, first 2 shown]
	v_add_f64 v[166:167], v[206:207], -v[78:79]
	v_add_f64 v[164:165], v[20:21], v[204:205]
	v_add_f64 v[172:173], v[22:23], v[206:207]
	v_add3_u32 v187, 0, v46, v47
	v_fma_f64 v[168:169], v[48:49], -0.5, v[20:21]
	v_fma_f64 v[170:171], v[56:57], -0.5, v[22:23]
	v_add_f64 v[20:21], v[12:13], v[92:93]
	v_fma_f64 v[12:13], v[162:163], -0.5, v[12:13]
	v_add_f64 v[22:23], v[202:203], -v[100:101]
	v_add_f64 v[18:19], v[18:19], v[98:99]
	v_fma_f64 v[48:49], v[166:167], s[4:5], v[54:55]
	v_fma_f64 v[54:55], v[166:167], s[6:7], v[54:55]
	ds_write_b64 v186, v[16:17] offset:160
	ds_write2_b64 v187, v[18:19], v[48:49] offset1:10
	ds_write_b64 v187, v[54:55] offset:160
	v_add_f64 v[16:17], v[20:21], v[104:105]
	v_fma_f64 v[20:21], v[22:23], s[4:5], v[12:13]
	v_add_f64 v[18:19], v[80:81], v[94:95]
	v_mul_u32_u24_e32 v46, 0xf0, v107
	v_lshlrev_b32_sdwa v47, v138, v108 dst_sel:DWORD dst_unused:UNUSED_PAD src0_sel:DWORD src1_sel:BYTE_0
	v_add3_u32 v188, 0, v46, v47
	v_fma_f64 v[12:13], v[22:23], s[6:7], v[12:13]
	v_add_f64 v[22:23], v[84:85], v[102:103]
	v_add_f64 v[46:47], v[150:151], -v[70:71]
	ds_write2_b64 v188, v[16:17], v[20:21] offset1:10
	v_add_f64 v[16:17], v[202:203], v[100:101]
	v_add_f64 v[20:21], v[150:151], v[70:71]
	v_fma_f64 v[18:19], v[18:19], -0.5, v[14:15]
	v_add_f64 v[14:15], v[14:15], v[80:81]
	v_add_f64 v[107:108], v[24:25], v[202:203]
	ds_write_b64 v188, v[12:13] offset:160
	v_add_f64 v[90:91], v[90:91], -v[98:99]
	v_add_f64 v[92:93], v[92:93], -v[104:105]
	v_fma_f64 v[162:163], v[16:17], -0.5, v[24:25]
	v_fma_f64 v[166:167], v[20:21], -0.5, v[26:27]
	v_add_f64 v[16:17], v[8:9], v[84:85]
	v_fma_f64 v[8:9], v[22:23], -0.5, v[8:9]
	v_add_f64 v[20:21], v[148:149], -v[86:87]
	v_add_f64 v[14:15], v[14:15], v[94:95]
	v_fma_f64 v[22:23], v[46:47], s[4:5], v[18:19]
	v_fma_f64 v[12:13], v[46:47], s[6:7], v[18:19]
	v_mul_u32_u24_e32 v24, 0xf0, v50
	v_lshlrev_b32_e32 v25, 3, v51
	v_add3_u32 v189, 0, v24, v25
	v_add_f64 v[16:17], v[16:17], v[102:103]
	v_fma_f64 v[18:19], v[20:21], s[4:5], v[8:9]
	v_fma_f64 v[8:9], v[20:21], s[6:7], v[8:9]
	ds_write2_b64 v189, v[14:15], v[22:23] offset1:10
	v_add_f64 v[14:15], v[82:83], v[96:97]
	ds_write_b64 v189, v[12:13] offset:160
	v_mul_u32_u24_e32 v12, 0xf0, v111
	v_lshlrev_b32_e32 v13, 3, v139
	v_add3_u32 v111, 0, v12, v13
	ds_write2_b64 v111, v[16:17], v[18:19] offset1:10
	v_add_f64 v[12:13], v[148:149], v[86:87]
	v_add_f64 v[16:17], v[152:153], v[88:89]
	v_fma_f64 v[14:15], v[14:15], -0.5, v[10:11]
	v_add_f64 v[10:11], v[10:11], v[82:83]
	v_add_f64 v[18:19], v[152:153], -v[88:89]
	v_add_f64 v[20:21], v[60:61], v[72:73]
	ds_write_b64 v111, v[8:9] offset:160
	v_mul_u32_u24_e32 v8, 0xf0, v109
	v_fma_f64 v[174:175], v[12:13], -0.5, v[28:29]
	v_fma_f64 v[176:177], v[16:17], -0.5, v[30:31]
	v_add_f64 v[16:17], v[4:5], v[60:61]
	v_add_f64 v[10:11], v[10:11], v[96:97]
	v_fma_f64 v[12:13], v[18:19], s[4:5], v[14:15]
	v_fma_f64 v[4:5], v[20:21], -0.5, v[4:5]
	v_add_f64 v[20:21], v[52:53], -v[66:67]
	v_fma_f64 v[14:15], v[18:19], s[6:7], v[14:15]
	v_lshlrev_b32_e32 v9, 3, v110
	v_add3_u32 v190, 0, v8, v9
	v_add_f64 v[8:9], v[16:17], v[72:73]
	v_add_f64 v[16:17], v[40:41], v[64:65]
	ds_write2_b64 v190, v[10:11], v[12:13] offset1:10
	v_add_f64 v[12:13], v[62:63], v[68:69]
	v_fma_f64 v[10:11], v[20:21], s[4:5], v[4:5]
	ds_write_b64 v190, v[14:15] offset:160
	v_mul_u32_u24_e32 v14, 0xf0, v142
	v_lshlrev_b32_e32 v15, 3, v143
	v_add3_u32 v191, 0, v14, v15
	v_fma_f64 v[4:5], v[20:21], s[6:7], v[4:5]
	v_add_f64 v[14:15], v[52:53], v[66:67]
	v_fma_f64 v[178:179], v[16:17], -0.5, v[34:35]
	ds_write2_b64 v191, v[8:9], v[10:11] offset1:10
	v_fma_f64 v[8:9], v[12:13], -0.5, v[6:7]
	v_add_f64 v[6:7], v[6:7], v[62:63]
	v_add_f64 v[10:11], v[40:41], -v[64:65]
	v_add_f64 v[12:13], v[74:75], v[154:155]
	ds_write_b64 v191, v[4:5] offset:160
	v_mul_u32_u24_e32 v16, 0xf0, v141
	v_lshlrev_b32_e32 v17, 3, v140
	v_add3_u32 v141, 0, v16, v17
	v_fma_f64 v[142:143], v[14:15], -0.5, v[32:33]
	v_add_f64 v[4:5], v[6:7], v[68:69]
	v_fma_f64 v[6:7], v[10:11], s[4:5], v[8:9]
	v_fma_f64 v[8:9], v[10:11], s[6:7], v[8:9]
	v_add_f64 v[10:11], v[0:1], v[74:75]
	v_fma_f64 v[0:1], v[12:13], -0.5, v[0:1]
	v_add_f64 v[12:13], v[58:59], -v[156:157]
	v_add_f64 v[14:15], v[76:77], v[158:159]
	ds_write2_b64 v141, v[4:5], v[6:7] offset1:10
	ds_write_b64 v141, v[8:9] offset:160
	v_mul_u32_u24_e32 v18, 0xf0, v145
	v_lshlrev_b32_e32 v19, 3, v144
	v_add3_u32 v192, 0, v18, v19
	v_fma_f64 v[6:7], v[12:13], s[4:5], v[0:1]
	v_fma_f64 v[0:1], v[12:13], s[6:7], v[0:1]
	v_add_f64 v[4:5], v[10:11], v[154:155]
	v_fma_f64 v[8:9], v[14:15], -0.5, v[2:3]
	v_add_f64 v[2:3], v[2:3], v[76:77]
	v_add_f64 v[14:15], v[42:43], -v[160:161]
	v_add_f64 v[10:11], v[58:59], v[156:157]
	v_add_f64 v[16:17], v[42:43], v[160:161]
	;; [unrolled: 1-line block ×3, first 2 shown]
	ds_write_b64 v192, v[0:1] offset:160
	v_mul_u32_u24_e32 v0, 0xf0, v146
	v_lshlrev_b32_e32 v1, 3, v147
	v_add_f64 v[146:147], v[164:165], v[200:201]
	v_add_f64 v[164:165], v[44:45], -v[208:209]
	ds_write2_b64 v192, v[4:5], v[6:7] offset1:10
	v_add_f64 v[2:3], v[2:3], v[158:159]
	v_fma_f64 v[4:5], v[14:15], s[4:5], v[8:9]
	v_fma_f64 v[6:7], v[14:15], s[6:7], v[8:9]
	v_add_f64 v[150:151], v[26:27], v[150:151]
	v_add_f64 v[80:81], v[80:81], -v[94:95]
	v_add3_u32 v193, 0, v0, v1
	v_fma_f64 v[98:99], v[164:165], s[6:7], v[168:169]
	v_fma_f64 v[104:105], v[164:165], s[4:5], v[168:169]
	;; [unrolled: 1-line block ×4, first 2 shown]
	v_add_f64 v[148:149], v[28:29], v[148:149]
	v_add_f64 v[152:153], v[30:31], v[152:153]
	;; [unrolled: 1-line block ×5, first 2 shown]
	v_fma_f64 v[144:145], v[10:11], -0.5, v[36:37]
	v_fma_f64 v[182:183], v[16:17], -0.5, v[38:39]
	v_add_f64 v[184:185], v[38:39], v[42:43]
	ds_write2_b64 v193, v[2:3], v[4:5] offset1:10
	ds_write_b64 v193, v[6:7] offset:160
	s_waitcnt lgkmcnt(0)
	s_barrier
	ds_read2_b64 v[16:19], v112 offset1:81
	ds_read2_b64 v[56:59], v113 offset0:42 offset1:123
	ds_read2_b64 v[52:55], v114 offset0:84 offset1:165
	;; [unrolled: 1-line block ×14, first 2 shown]
	s_waitcnt lgkmcnt(0)
	s_barrier
	ds_write2_b64 v186, v[146:147], v[98:99] offset1:10
	ds_write_b64 v186, v[104:105] offset:160
	ds_write2_b64 v187, v[78:79], v[164:165] offset1:10
	ds_write_b64 v187, v[90:91] offset:160
	v_add_f64 v[78:79], v[84:85], -v[102:103]
	v_add_f64 v[82:83], v[82:83], -v[96:97]
	v_add_f64 v[100:101], v[107:108], v[100:101]
	v_fma_f64 v[107:108], v[92:93], s[6:7], v[162:163]
	v_fma_f64 v[84:85], v[92:93], s[4:5], v[162:163]
	v_add_f64 v[70:71], v[150:151], v[70:71]
	v_fma_f64 v[90:91], v[80:81], s[6:7], v[166:167]
	v_add_f64 v[60:61], v[60:61], -v[72:73]
	v_fma_f64 v[80:81], v[80:81], s[4:5], v[166:167]
	v_add_f64 v[62:63], v[62:63], -v[68:69]
	v_add_f64 v[86:87], v[148:149], v[86:87]
	v_fma_f64 v[92:93], v[78:79], s[6:7], v[174:175]
	v_add_f64 v[68:69], v[74:75], -v[154:155]
	v_fma_f64 v[78:79], v[78:79], s[4:5], v[174:175]
	v_add_f64 v[88:89], v[152:153], v[88:89]
	v_fma_f64 v[94:95], v[82:83], s[6:7], v[176:177]
	v_fma_f64 v[82:83], v[82:83], s[4:5], v[176:177]
	v_add_f64 v[72:73], v[76:77], -v[158:159]
	ds_write2_b64 v188, v[100:101], v[107:108] offset1:10
	ds_write_b64 v188, v[84:85] offset:160
	ds_write2_b64 v189, v[70:71], v[90:91] offset1:10
	ds_write_b64 v189, v[80:81] offset:160
	v_add_f64 v[66:67], v[109:110], v[66:67]
	v_fma_f64 v[70:71], v[60:61], s[6:7], v[142:143]
	v_fma_f64 v[60:61], v[60:61], s[4:5], v[142:143]
	v_add_f64 v[64:65], v[180:181], v[64:65]
	v_fma_f64 v[74:75], v[62:63], s[6:7], v[178:179]
	v_fma_f64 v[62:63], v[62:63], s[4:5], v[178:179]
	ds_write2_b64 v111, v[86:87], v[92:93] offset1:10
	ds_write_b64 v111, v[78:79] offset:160
	ds_write2_b64 v190, v[88:89], v[94:95] offset1:10
	v_add_f64 v[76:77], v[139:140], v[156:157]
	v_fma_f64 v[78:79], v[68:69], s[6:7], v[144:145]
	v_fma_f64 v[68:69], v[68:69], s[4:5], v[144:145]
	ds_write_b64 v190, v[82:83] offset:160
	v_add_f64 v[80:81], v[184:185], v[160:161]
	v_fma_f64 v[82:83], v[72:73], s[6:7], v[182:183]
	v_fma_f64 v[72:73], v[72:73], s[4:5], v[182:183]
	ds_write2_b64 v191, v[66:67], v[70:71] offset1:10
	ds_write_b64 v191, v[60:61] offset:160
	ds_write2_b64 v141, v[64:65], v[74:75] offset1:10
	ds_write_b64 v141, v[62:63] offset:160
	ds_write2_b64 v192, v[76:77], v[78:79] offset1:10
	ds_write_b64 v192, v[68:69] offset:160
	ds_write2_b64 v193, v[80:81], v[82:83] offset1:10
	ds_write_b64 v193, v[72:73] offset:160
	v_mul_lo_u16_sdwa v60, v120, s10 dst_sel:DWORD dst_unused:UNUSED_PAD src0_sel:BYTE_0 src1_sel:DWORD
	v_lshrrev_b16_e32 v107, 12, v60
	v_mul_lo_u16_e32 v60, 30, v107
	v_sub_u16_e32 v108, v120, v60
	v_lshlrev_b32_sdwa v64, v106, v108 dst_sel:DWORD dst_unused:UNUSED_PAD src0_sel:DWORD src1_sel:BYTE_0
	s_waitcnt lgkmcnt(0)
	s_barrier
	global_load_dwordx4 v[60:63], v64, s[8:9] offset:320
	s_nop 0
	global_load_dwordx4 v[64:67], v64, s[8:9] offset:336
	v_mul_lo_u16_sdwa v68, v136, s10 dst_sel:DWORD dst_unused:UNUSED_PAD src0_sel:BYTE_0 src1_sel:DWORD
	v_lshrrev_b16_e32 v104, 12, v68
	v_mul_lo_u16_e32 v68, 30, v104
	v_sub_u16_e32 v105, v136, v68
	v_lshlrev_b32_sdwa v76, v106, v105 dst_sel:DWORD dst_unused:UNUSED_PAD src0_sel:DWORD src1_sel:BYTE_0
	global_load_dwordx4 v[68:71], v76, s[8:9] offset:320
	global_load_dwordx4 v[72:75], v76, s[8:9] offset:336
	v_mul_lo_u16_sdwa v76, v137, s10 dst_sel:DWORD dst_unused:UNUSED_PAD src0_sel:BYTE_0 src1_sel:DWORD
	v_lshrrev_b16_e32 v109, 12, v76
	v_mul_lo_u16_e32 v76, 30, v109
	v_sub_u16_e32 v110, v137, v76
	v_lshlrev_b32_sdwa v76, v106, v110 dst_sel:DWORD dst_unused:UNUSED_PAD src0_sel:DWORD src1_sel:BYTE_0
	global_load_dwordx4 v[78:81], v76, s[8:9] offset:320
	s_mov_b32 s10, 0x8889
	v_mul_u32_u24_sdwa v77, v128, s10 dst_sel:DWORD dst_unused:UNUSED_PAD src0_sel:WORD_0 src1_sel:DWORD
	v_lshrrev_b32_e32 v111, 20, v77
	v_mul_lo_u16_e32 v77, 30, v111
	v_sub_u16_e32 v139, v128, v77
	v_lshlrev_b32_e32 v77, 5, v139
	global_load_dwordx4 v[84:87], v77, s[8:9] offset:320
	global_load_dwordx4 v[98:101], v76, s[8:9] offset:336
                                        ; kill: killed $vgpr76
	global_load_dwordx4 v[152:155], v77, s[8:9] offset:336
	v_mul_u32_u24_sdwa v76, v134, s10 dst_sel:DWORD dst_unused:UNUSED_PAD src0_sel:WORD_0 src1_sel:DWORD
	v_lshrrev_b32_e32 v142, 20, v76
	v_mul_lo_u16_e32 v76, 30, v142
	v_sub_u16_e32 v143, v134, v76
	v_lshlrev_b32_e32 v76, 5, v143
	global_load_dwordx4 v[156:159], v76, s[8:9] offset:320
	v_mul_u32_u24_sdwa v77, v117, s10 dst_sel:DWORD dst_unused:UNUSED_PAD src0_sel:WORD_0 src1_sel:DWORD
	v_lshrrev_b32_e32 v140, 20, v77
	v_mul_lo_u16_e32 v77, 30, v140
	v_sub_u16_e32 v141, v117, v77
	v_lshlrev_b32_e32 v77, 5, v141
	global_load_dwordx4 v[160:163], v77, s[8:9] offset:320
	global_load_dwordx4 v[164:167], v76, s[8:9] offset:336
	;; [unrolled: 1-line block ×3, first 2 shown]
	v_mul_u32_u24_sdwa v76, v118, s10 dst_sel:DWORD dst_unused:UNUSED_PAD src0_sel:WORD_0 src1_sel:DWORD
	v_lshrrev_b32_e32 v146, 20, v76
	v_mul_lo_u16_e32 v76, 30, v146
	v_sub_u16_e32 v147, v118, v76
	v_lshlrev_b32_e32 v76, 5, v147
	global_load_dwordx4 v[172:175], v76, s[8:9] offset:320
	v_mul_u32_u24_sdwa v77, v135, s10 dst_sel:DWORD dst_unused:UNUSED_PAD src0_sel:WORD_0 src1_sel:DWORD
	v_lshrrev_b32_e32 v145, 20, v77
	v_mul_lo_u16_e32 v77, 30, v145
	v_sub_u16_e32 v144, v135, v77
	v_lshlrev_b32_e32 v77, 5, v144
	global_load_dwordx4 v[176:179], v77, s[8:9] offset:320
	global_load_dwordx4 v[180:183], v76, s[8:9] offset:336
	v_mul_u32_u24_sdwa v76, v124, s10 dst_sel:DWORD dst_unused:UNUSED_PAD src0_sel:WORD_0 src1_sel:DWORD
	v_lshrrev_b32_e32 v149, 20, v76
	v_mul_lo_u16_e32 v76, 30, v149
	v_sub_u16_e32 v148, v124, v76
	v_lshlrev_b32_e32 v82, 5, v148
	global_load_dwordx4 v[184:187], v77, s[8:9] offset:336
	global_load_dwordx4 v[188:191], v82, s[8:9] offset:320
	v_mul_u32_u24_sdwa v83, v119, s10 dst_sel:DWORD dst_unused:UNUSED_PAD src0_sel:WORD_0 src1_sel:DWORD
	v_lshrrev_b32_e32 v150, 20, v83
	v_mul_lo_u16_e32 v83, 30, v150
	v_sub_u16_e32 v151, v119, v83
	v_lshlrev_b32_e32 v83, 5, v151
	ds_read2_b64 v[88:91], v113 offset0:42 offset1:123
	global_load_dwordx4 v[192:195], v83, s[8:9] offset:320
	global_load_dwordx4 v[196:199], v82, s[8:9] offset:336
	ds_read2_b64 v[200:203], v114 offset0:84 offset1:165
	global_load_dwordx4 v[204:207], v83, s[8:9] offset:336
	ds_read2_b64 v[208:211], v116 offset0:76 offset1:157
	s_movk_i32 s10, 0xb7
	s_waitcnt vmcnt(19) lgkmcnt(2)
	v_mul_f64 v[76:77], v[88:89], v[62:63]
	v_mul_f64 v[62:63], v[56:57], v[62:63]
	s_waitcnt vmcnt(16) lgkmcnt(1)
	v_mul_f64 v[82:83], v[202:203], v[74:75]
	v_fma_f64 v[212:213], v[56:57], v[60:61], v[76:77]
	v_mul_f64 v[56:57], v[200:201], v[66:67]
	v_mul_f64 v[76:77], v[90:91], v[70:71]
	v_mul_f64 v[70:71], v[58:59], v[70:71]
	v_fma_f64 v[214:215], v[88:89], v[60:61], -v[62:63]
	s_waitcnt vmcnt(15)
	v_mul_f64 v[60:61], v[48:49], v[80:81]
	v_mul_f64 v[66:67], v[52:53], v[66:67]
	;; [unrolled: 1-line block ×3, first 2 shown]
	v_fma_f64 v[96:97], v[54:55], v[72:73], v[82:83]
	v_fma_f64 v[216:217], v[52:53], v[64:65], v[56:57]
	s_waitcnt lgkmcnt(0)
	v_mul_f64 v[56:57], v[208:209], v[80:81]
	v_fma_f64 v[94:95], v[58:59], v[68:69], v[76:77]
	v_fma_f64 v[218:219], v[90:91], v[68:69], -v[70:71]
	ds_read2_b64 v[52:55], v115 offset0:118 offset1:199
	s_waitcnt vmcnt(12)
	v_mul_f64 v[70:71], v[46:47], v[154:155]
	v_fma_f64 v[200:201], v[200:201], v[64:65], -v[66:67]
	v_mul_f64 v[62:63], v[50:51], v[86:87]
	v_mul_f64 v[66:67], v[44:45], v[100:101]
	v_fma_f64 v[90:91], v[48:49], v[78:79], v[56:57]
	ds_read2_b64 v[56:59], v125 offset0:110 offset1:191
	s_waitcnt lgkmcnt(1)
	v_mul_f64 v[68:69], v[54:55], v[154:155]
	v_fma_f64 v[154:155], v[208:209], v[78:79], -v[60:61]
	v_mul_f64 v[48:49], v[210:211], v[86:87]
	v_mul_f64 v[64:65], v[52:53], v[100:101]
	s_waitcnt vmcnt(11) lgkmcnt(0)
	v_mul_f64 v[60:61], v[56:57], v[158:159]
	v_fma_f64 v[76:77], v[202:203], v[72:73], -v[74:75]
	v_fma_f64 v[202:203], v[210:211], v[84:85], -v[62:63]
	s_waitcnt vmcnt(9)
	v_mul_f64 v[62:63], v[36:37], v[166:167]
	v_fma_f64 v[88:89], v[46:47], v[152:153], v[68:69]
	v_fma_f64 v[68:69], v[54:55], v[152:153], -v[70:71]
	v_fma_f64 v[82:83], v[50:51], v[84:85], v[48:49]
	v_fma_f64 v[102:103], v[44:45], v[98:99], v[64:65]
	;; [unrolled: 1-line block ×3, first 2 shown]
	v_mul_f64 v[40:41], v[40:41], v[158:159]
	ds_read2_b64 v[44:47], v126 offset0:152 offset1:233
	ds_read2_b64 v[48:51], v129 offset0:16 offset1:97
	v_fma_f64 v[98:99], v[52:53], v[98:99], -v[66:67]
	s_waitcnt vmcnt(8)
	v_mul_f64 v[66:67], v[38:39], v[170:171]
	v_mul_f64 v[52:53], v[58:59], v[162:163]
	s_waitcnt lgkmcnt(1)
	v_mul_f64 v[60:61], v[44:45], v[166:167]
	v_mul_f64 v[54:55], v[42:43], v[162:163]
	v_fma_f64 v[56:57], v[56:57], v[156:157], -v[40:41]
	s_waitcnt vmcnt(7) lgkmcnt(0)
	v_mul_f64 v[40:41], v[48:49], v[174:175]
	v_mul_f64 v[64:65], v[46:47], v[170:171]
	v_fma_f64 v[84:85], v[44:45], v[164:165], -v[62:63]
	v_fma_f64 v[80:81], v[46:47], v[168:169], -v[66:67]
	v_mul_f64 v[44:45], v[32:33], v[174:175]
	v_fma_f64 v[100:101], v[36:37], v[164:165], v[60:61]
	s_waitcnt vmcnt(6)
	v_mul_f64 v[46:47], v[50:51], v[178:179]
	v_fma_f64 v[86:87], v[42:43], v[160:161], v[52:53]
	v_fma_f64 v[60:61], v[32:33], v[172:173], v[40:41]
	v_mul_f64 v[32:33], v[34:35], v[178:179]
	ds_read2_b64 v[40:43], v132 offset0:50 offset1:131
	v_fma_f64 v[52:53], v[58:59], v[160:161], -v[54:55]
	s_waitcnt vmcnt(5)
	v_mul_f64 v[58:59], v[28:29], v[182:183]
	v_fma_f64 v[92:93], v[38:39], v[168:169], v[64:65]
	v_fma_f64 v[62:63], v[34:35], v[176:177], v[46:47]
	ds_read2_b64 v[36:39], v130 offset0:58 offset1:139
	s_waitcnt vmcnt(4)
	v_mul_f64 v[34:35], v[30:31], v[186:187]
	v_fma_f64 v[46:47], v[50:51], v[176:177], -v[32:33]
	s_waitcnt vmcnt(3) lgkmcnt(1)
	v_mul_f64 v[32:33], v[40:41], v[190:191]
	v_fma_f64 v[44:45], v[48:49], v[172:173], -v[44:45]
	s_waitcnt lgkmcnt(0)
	v_mul_f64 v[64:65], v[38:39], v[186:187]
	v_mul_f64 v[54:55], v[36:37], v[182:183]
	v_fma_f64 v[66:67], v[36:37], v[180:181], -v[58:59]
	v_mul_f64 v[36:37], v[20:21], v[190:191]
	v_add_f64 v[48:49], v[212:213], v[216:217]
	v_add_f64 v[58:59], v[94:95], v[96:97]
	v_fma_f64 v[74:75], v[20:21], v[188:189], v[32:33]
	s_waitcnt vmcnt(2)
	v_mul_f64 v[20:21], v[22:23], v[194:195]
	v_fma_f64 v[70:71], v[30:31], v[184:185], v[64:65]
	v_fma_f64 v[64:65], v[38:39], v[184:185], -v[34:35]
	v_mul_f64 v[34:35], v[42:43], v[194:195]
	v_fma_f64 v[72:73], v[28:29], v[180:181], v[54:55]
	ds_read2_b64 v[28:31], v133 offset0:92 offset1:173
	s_waitcnt vmcnt(1)
	v_mul_f64 v[38:39], v[24:25], v[198:199]
	v_fma_f64 v[40:41], v[40:41], v[188:189], -v[36:37]
	v_fma_f64 v[42:43], v[42:43], v[192:193], -v[20:21]
	v_add_f64 v[20:21], v[16:17], v[212:213]
	v_fma_f64 v[16:17], v[48:49], -0.5, v[16:17]
	v_add_f64 v[48:49], v[214:215], -v[200:201]
	v_fma_f64 v[152:153], v[22:23], v[192:193], v[34:35]
	s_waitcnt vmcnt(0)
	v_mul_f64 v[22:23], v[26:27], v[206:207]
	s_waitcnt lgkmcnt(0)
	v_mul_f64 v[32:33], v[28:29], v[198:199]
	v_mul_f64 v[36:37], v[30:31], v[206:207]
	v_fma_f64 v[158:159], v[28:29], v[196:197], -v[38:39]
	v_add_f64 v[50:51], v[20:21], v[216:217]
	v_add_f64 v[164:165], v[218:219], -v[76:77]
	v_fma_f64 v[54:55], v[48:49], s[4:5], v[16:17]
	v_fma_f64 v[16:17], v[48:49], s[6:7], v[16:17]
	v_fma_f64 v[162:163], v[30:31], v[204:205], -v[22:23]
	v_mul_u32_u24_e32 v22, 0x2d0, v107
	v_lshlrev_b32_sdwa v23, v138, v108 dst_sel:DWORD dst_unused:UNUSED_PAD src0_sel:DWORD src1_sel:BYTE_0
	v_add3_u32 v186, 0, v22, v23
	v_fma_f64 v[156:157], v[24:25], v[196:197], v[32:33]
	v_fma_f64 v[160:161], v[26:27], v[204:205], v[36:37]
	ds_read2_b64 v[20:23], v112 offset1:81
	ds_read2_b64 v[24:27], v112 offset0:162 offset1:243
	ds_read2_b64 v[28:31], v121 offset0:68 offset1:149
	;; [unrolled: 1-line block ×4, first 2 shown]
	s_waitcnt lgkmcnt(0)
	s_barrier
	ds_write2_b64 v186, v[50:51], v[54:55] offset1:30
	v_add_f64 v[50:51], v[214:215], v[200:201]
	v_add_f64 v[54:55], v[218:219], v[76:77]
	v_fma_f64 v[48:49], v[58:59], -0.5, v[18:19]
	v_add_f64 v[58:59], v[90:91], v[102:103]
	v_add_f64 v[18:19], v[18:19], v[94:95]
	;; [unrolled: 1-line block ×4, first 2 shown]
	ds_write_b64 v186, v[16:17] offset:480
	v_fma_f64 v[166:167], v[50:51], -0.5, v[20:21]
	v_fma_f64 v[168:169], v[54:55], -0.5, v[22:23]
	v_add_f64 v[20:21], v[12:13], v[90:91]
	v_fma_f64 v[12:13], v[58:59], -0.5, v[12:13]
	v_add_f64 v[22:23], v[154:155], -v[98:99]
	v_add_f64 v[18:19], v[18:19], v[96:97]
	v_fma_f64 v[50:51], v[164:165], s[4:5], v[48:49]
	v_fma_f64 v[48:49], v[164:165], s[6:7], v[48:49]
	v_mul_u32_u24_e32 v54, 0x2d0, v104
	v_lshlrev_b32_sdwa v55, v138, v105 dst_sel:DWORD dst_unused:UNUSED_PAD src0_sel:DWORD src1_sel:BYTE_0
	v_add3_u32 v187, 0, v54, v55
	v_add_f64 v[16:17], v[20:21], v[102:103]
	v_fma_f64 v[20:21], v[22:23], s[4:5], v[12:13]
	ds_write2_b64 v187, v[18:19], v[50:51] offset1:30
	ds_write_b64 v187, v[48:49] offset:480
	v_add_f64 v[18:19], v[82:83], v[88:89]
	v_mul_u32_u24_e32 v48, 0x2d0, v109
	v_lshlrev_b32_sdwa v49, v138, v110 dst_sel:DWORD dst_unused:UNUSED_PAD src0_sel:DWORD src1_sel:BYTE_0
	v_add3_u32 v188, 0, v48, v49
	v_fma_f64 v[12:13], v[22:23], s[6:7], v[12:13]
	ds_write2_b64 v188, v[16:17], v[20:21] offset1:30
	v_add_f64 v[16:17], v[154:155], v[98:99]
	v_add_f64 v[20:21], v[202:203], v[68:69]
	v_fma_f64 v[18:19], v[18:19], -0.5, v[14:15]
	v_add_f64 v[22:23], v[78:79], v[100:101]
	v_add_f64 v[14:15], v[14:15], v[82:83]
	v_add_f64 v[48:49], v[202:203], -v[68:69]
	v_add_f64 v[104:105], v[24:25], v[154:155]
	ds_write_b64 v188, v[12:13] offset:480
	v_fma_f64 v[109:110], v[16:17], -0.5, v[24:25]
	v_fma_f64 v[154:155], v[20:21], -0.5, v[26:27]
	v_add_f64 v[16:17], v[8:9], v[78:79]
	v_fma_f64 v[8:9], v[22:23], -0.5, v[8:9]
	v_add_f64 v[20:21], v[56:57], -v[84:85]
	v_add_f64 v[14:15], v[14:15], v[88:89]
	v_fma_f64 v[22:23], v[48:49], s[4:5], v[18:19]
	v_fma_f64 v[12:13], v[48:49], s[6:7], v[18:19]
	v_mul_u32_u24_e32 v24, 0x2d0, v111
	v_lshlrev_b32_e32 v25, 3, v139
	v_add3_u32 v111, 0, v24, v25
	v_add_f64 v[16:17], v[16:17], v[100:101]
	v_fma_f64 v[18:19], v[20:21], s[4:5], v[8:9]
	v_fma_f64 v[8:9], v[20:21], s[6:7], v[8:9]
	ds_write2_b64 v111, v[14:15], v[22:23] offset1:30
	v_add_f64 v[14:15], v[86:87], v[92:93]
	ds_write_b64 v111, v[12:13] offset:480
	v_mul_u32_u24_e32 v12, 0x2d0, v142
	v_lshlrev_b32_e32 v13, 3, v143
	v_add3_u32 v189, 0, v12, v13
	ds_write2_b64 v189, v[16:17], v[18:19] offset1:30
	v_add_f64 v[12:13], v[56:57], v[84:85]
	v_add_f64 v[16:17], v[52:53], v[80:81]
	v_fma_f64 v[14:15], v[14:15], -0.5, v[10:11]
	v_add_f64 v[10:11], v[10:11], v[86:87]
	v_add_f64 v[18:19], v[52:53], -v[80:81]
	v_add_f64 v[20:21], v[60:61], v[72:73]
	ds_write_b64 v189, v[8:9] offset:480
	v_mul_u32_u24_e32 v8, 0x2d0, v140
	v_fma_f64 v[172:173], v[12:13], -0.5, v[28:29]
	v_fma_f64 v[174:175], v[16:17], -0.5, v[30:31]
	v_add_f64 v[16:17], v[4:5], v[60:61]
	v_add_f64 v[10:11], v[10:11], v[92:93]
	v_fma_f64 v[12:13], v[18:19], s[4:5], v[14:15]
	v_fma_f64 v[4:5], v[20:21], -0.5, v[4:5]
	v_add_f64 v[20:21], v[44:45], -v[66:67]
	v_fma_f64 v[14:15], v[18:19], s[6:7], v[14:15]
	v_lshlrev_b32_e32 v9, 3, v141
	v_add3_u32 v141, 0, v8, v9
	v_add_f64 v[8:9], v[16:17], v[72:73]
	v_add_f64 v[16:17], v[46:47], v[64:65]
	ds_write2_b64 v141, v[10:11], v[12:13] offset1:30
	v_add_f64 v[12:13], v[62:63], v[70:71]
	v_fma_f64 v[10:11], v[20:21], s[4:5], v[4:5]
	ds_write_b64 v141, v[14:15] offset:480
	v_mul_u32_u24_e32 v14, 0x2d0, v146
	v_lshlrev_b32_e32 v15, 3, v147
	v_add3_u32 v190, 0, v14, v15
	v_fma_f64 v[4:5], v[20:21], s[6:7], v[4:5]
	v_add_f64 v[14:15], v[44:45], v[66:67]
	v_fma_f64 v[178:179], v[16:17], -0.5, v[34:35]
	ds_write2_b64 v190, v[8:9], v[10:11] offset1:30
	v_fma_f64 v[8:9], v[12:13], -0.5, v[6:7]
	v_add_f64 v[6:7], v[6:7], v[62:63]
	v_add_f64 v[10:11], v[46:47], -v[64:65]
	v_add_f64 v[12:13], v[74:75], v[156:157]
	ds_write_b64 v190, v[4:5] offset:480
	v_mul_u32_u24_e32 v16, 0x2d0, v145
	v_lshlrev_b32_e32 v17, 3, v144
	v_add3_u32 v191, 0, v16, v17
	v_fma_f64 v[146:147], v[14:15], -0.5, v[32:33]
	v_add_f64 v[4:5], v[6:7], v[70:71]
	v_fma_f64 v[6:7], v[10:11], s[4:5], v[8:9]
	v_fma_f64 v[8:9], v[10:11], s[6:7], v[8:9]
	v_add_f64 v[10:11], v[0:1], v[74:75]
	v_fma_f64 v[0:1], v[12:13], -0.5, v[0:1]
	v_add_f64 v[12:13], v[40:41], -v[158:159]
	v_add_f64 v[14:15], v[152:153], v[160:161]
	ds_write2_b64 v191, v[4:5], v[6:7] offset1:30
	ds_write_b64 v191, v[8:9] offset:480
	v_mul_u32_u24_e32 v18, 0x2d0, v149
	v_lshlrev_b32_e32 v19, 3, v148
	v_add3_u32 v192, 0, v18, v19
	v_fma_f64 v[6:7], v[12:13], s[4:5], v[0:1]
	v_fma_f64 v[0:1], v[12:13], s[6:7], v[0:1]
	v_add_f64 v[4:5], v[10:11], v[156:157]
	v_fma_f64 v[8:9], v[14:15], -0.5, v[2:3]
	v_add_f64 v[2:3], v[2:3], v[152:153]
	v_add_f64 v[14:15], v[42:43], -v[162:163]
	v_add_f64 v[94:95], v[94:95], -v[96:97]
	v_add_f64 v[164:165], v[26:27], v[202:203]
	v_add_f64 v[10:11], v[40:41], v[158:159]
	ds_write_b64 v192, v[0:1] offset:480
	v_mul_u32_u24_e32 v0, 0x2d0, v150
	v_lshlrev_b32_e32 v1, 3, v151
	v_add_f64 v[150:151], v[212:213], -v[216:217]
	v_add_f64 v[16:17], v[42:43], v[162:163]
	ds_write2_b64 v192, v[4:5], v[6:7] offset1:30
	v_add_f64 v[2:3], v[2:3], v[160:161]
	v_fma_f64 v[4:5], v[14:15], s[4:5], v[8:9]
	v_fma_f64 v[6:7], v[14:15], s[6:7], v[8:9]
	v_add_f64 v[107:108], v[107:108], v[200:201]
	v_add_f64 v[90:91], v[90:91], -v[102:103]
	v_fma_f64 v[96:97], v[150:151], s[6:7], v[166:167]
	v_fma_f64 v[102:103], v[150:151], s[4:5], v[166:167]
	v_add_f64 v[76:77], v[170:171], v[76:77]
	v_fma_f64 v[150:151], v[94:95], s[6:7], v[168:169]
	v_add_f64 v[82:83], v[82:83], -v[88:89]
	v_fma_f64 v[94:95], v[94:95], s[4:5], v[168:169]
	v_add3_u32 v193, 0, v0, v1
	v_add_f64 v[142:143], v[28:29], v[56:57]
	v_add_f64 v[176:177], v[30:31], v[52:53]
	v_add_f64 v[139:140], v[32:33], v[44:45]
	v_add_f64 v[180:181], v[34:35], v[46:47]
	v_add_f64 v[144:145], v[36:37], v[40:41]
	v_fma_f64 v[148:149], v[10:11], -0.5, v[36:37]
	v_fma_f64 v[182:183], v[16:17], -0.5, v[38:39]
	v_add_f64 v[184:185], v[38:39], v[42:43]
	ds_write2_b64 v193, v[2:3], v[4:5] offset1:30
	ds_write_b64 v193, v[6:7] offset:480
	s_waitcnt lgkmcnt(0)
	s_barrier
	ds_read2_b64 v[16:19], v112 offset1:81
	ds_read2_b64 v[56:59], v113 offset0:42 offset1:123
	ds_read2_b64 v[52:55], v114 offset0:84 offset1:165
	;; [unrolled: 1-line block ×14, first 2 shown]
	s_waitcnt lgkmcnt(0)
	s_barrier
	v_add_f64 v[98:99], v[104:105], v[98:99]
	v_fma_f64 v[104:105], v[90:91], s[6:7], v[109:110]
	ds_write2_b64 v186, v[107:108], v[96:97] offset1:30
	ds_write_b64 v186, v[102:103] offset:480
	ds_write2_b64 v187, v[76:77], v[150:151] offset1:30
	ds_write_b64 v187, v[94:95] offset:480
	v_add_f64 v[76:77], v[78:79], -v[100:101]
	v_fma_f64 v[78:79], v[90:91], s[4:5], v[109:110]
	v_add_f64 v[86:87], v[86:87], -v[92:93]
	v_add_f64 v[68:69], v[164:165], v[68:69]
	v_fma_f64 v[88:89], v[82:83], s[6:7], v[154:155]
	v_fma_f64 v[82:83], v[82:83], s[4:5], v[154:155]
	v_add_f64 v[60:61], v[60:61], -v[72:73]
	v_add_f64 v[62:63], v[62:63], -v[70:71]
	ds_write2_b64 v188, v[98:99], v[104:105] offset1:30
	v_add_f64 v[84:85], v[142:143], v[84:85]
	v_fma_f64 v[90:91], v[76:77], s[6:7], v[172:173]
	ds_write_b64 v188, v[78:79] offset:480
	v_fma_f64 v[78:79], v[86:87], s[4:5], v[174:175]
	ds_write2_b64 v111, v[68:69], v[88:89] offset1:30
	ds_write_b64 v111, v[82:83] offset:480
	v_add_f64 v[68:69], v[74:75], -v[156:157]
	v_fma_f64 v[76:77], v[76:77], s[4:5], v[172:173]
	v_add_f64 v[80:81], v[176:177], v[80:81]
	v_fma_f64 v[92:93], v[86:87], s[6:7], v[174:175]
	v_add_f64 v[72:73], v[152:153], -v[160:161]
	v_add_f64 v[66:67], v[139:140], v[66:67]
	v_fma_f64 v[70:71], v[60:61], s[6:7], v[146:147]
	v_fma_f64 v[60:61], v[60:61], s[4:5], v[146:147]
	v_add_f64 v[64:65], v[180:181], v[64:65]
	v_fma_f64 v[74:75], v[62:63], s[6:7], v[178:179]
	v_fma_f64 v[62:63], v[62:63], s[4:5], v[178:179]
	ds_write2_b64 v189, v[84:85], v[90:91] offset1:30
	ds_write_b64 v189, v[76:77] offset:480
	ds_write2_b64 v141, v[80:81], v[92:93] offset1:30
	ds_write_b64 v141, v[78:79] offset:480
	v_add_f64 v[76:77], v[144:145], v[158:159]
	v_fma_f64 v[78:79], v[68:69], s[6:7], v[148:149]
	v_fma_f64 v[68:69], v[68:69], s[4:5], v[148:149]
	v_add_f64 v[80:81], v[184:185], v[162:163]
	v_fma_f64 v[82:83], v[72:73], s[6:7], v[182:183]
	v_fma_f64 v[72:73], v[72:73], s[4:5], v[182:183]
	ds_write2_b64 v190, v[66:67], v[70:71] offset1:30
	ds_write_b64 v190, v[60:61] offset:480
	ds_write2_b64 v191, v[64:65], v[74:75] offset1:30
	ds_write_b64 v191, v[62:63] offset:480
	;; [unrolled: 2-line block ×4, first 2 shown]
	v_lshlrev_b32_e32 v82, 1, v120
	v_mov_b32_e32 v83, 0
	v_lshlrev_b64 v[60:61], 4, v[82:83]
	v_mov_b32_e32 v139, s9
	v_add_co_u32_e32 v84, vcc, s8, v60
	v_addc_co_u32_e32 v85, vcc, v139, v61, vcc
	s_waitcnt lgkmcnt(0)
	s_barrier
	global_load_dwordx4 v[60:63], v[84:85], off offset:1280
	global_load_dwordx4 v[64:67], v[84:85], off offset:1296
	v_add_u32_e32 v68, -9, v120
	v_cmp_gt_u32_e32 vcc, 9, v120
	v_cndmask_b32_e32 v140, v68, v136, vcc
	v_lshlrev_b32_e32 v68, 1, v140
	v_mov_b32_e32 v69, v83
	v_lshlrev_b64 v[68:69], 4, v[68:69]
	v_add_co_u32_e32 v76, vcc, s8, v68
	v_addc_co_u32_e32 v77, vcc, v139, v69, vcc
	global_load_dwordx4 v[68:71], v[76:77], off offset:1280
	global_load_dwordx4 v[72:75], v[76:77], off offset:1296
	v_mul_lo_u16_sdwa v76, v137, s10 dst_sel:DWORD dst_unused:UNUSED_PAD src0_sel:BYTE_0 src1_sel:DWORD
	v_lshrrev_b16_e32 v141, 14, v76
	v_mul_lo_u16_e32 v76, 0x5a, v141
	v_sub_u16_e32 v142, v137, v76
	v_lshlrev_b32_sdwa v76, v106, v142 dst_sel:DWORD dst_unused:UNUSED_PAD src0_sel:DWORD src1_sel:BYTE_0
	global_load_dwordx4 v[78:81], v76, s[8:9] offset:1280
	s_movk_i32 s10, 0x2d83
	v_mul_u32_u24_sdwa v77, v128, s10 dst_sel:DWORD dst_unused:UNUSED_PAD src0_sel:WORD_0 src1_sel:DWORD
	v_lshrrev_b32_e32 v143, 20, v77
	v_mul_lo_u16_e32 v77, 0x5a, v143
	v_sub_u16_e32 v144, v128, v77
	v_lshlrev_b32_e32 v77, 5, v144
	global_load_dwordx4 v[86:89], v77, s[8:9] offset:1280
	global_load_dwordx4 v[90:93], v76, s[8:9] offset:1296
                                        ; kill: killed $vgpr76
	global_load_dwordx4 v[100:103], v77, s[8:9] offset:1296
	v_mul_u32_u24_sdwa v76, v134, s10 dst_sel:DWORD dst_unused:UNUSED_PAD src0_sel:WORD_0 src1_sel:DWORD
	v_lshrrev_b32_e32 v147, 20, v76
	v_mul_lo_u16_e32 v76, 0x5a, v147
	v_sub_u16_e32 v148, v134, v76
	v_lshlrev_b32_e32 v76, 5, v148
	global_load_dwordx4 v[108:111], v76, s[8:9] offset:1280
	v_mul_u32_u24_sdwa v77, v117, s10 dst_sel:DWORD dst_unused:UNUSED_PAD src0_sel:WORD_0 src1_sel:DWORD
	v_lshrrev_b32_e32 v145, 20, v77
	v_mul_lo_u16_e32 v77, 0x5a, v145
	v_sub_u16_e32 v146, v117, v77
	v_lshlrev_b32_e32 v77, 5, v146
	global_load_dwordx4 v[156:159], v77, s[8:9] offset:1280
	global_load_dwordx4 v[160:163], v76, s[8:9] offset:1296
	;; [unrolled: 1-line block ×3, first 2 shown]
	v_mul_u32_u24_sdwa v76, v118, s10 dst_sel:DWORD dst_unused:UNUSED_PAD src0_sel:WORD_0 src1_sel:DWORD
	v_mul_u32_u24_sdwa v77, v135, s10 dst_sel:DWORD dst_unused:UNUSED_PAD src0_sel:WORD_0 src1_sel:DWORD
	v_lshrrev_b32_e32 v151, 20, v76
	v_lshrrev_b32_e32 v150, 20, v77
	v_mul_lo_u16_e32 v76, 0x5a, v151
	v_mul_lo_u16_e32 v77, 0x5a, v150
	v_sub_u16_e32 v152, v118, v76
	v_sub_u16_e32 v149, v135, v77
	v_lshlrev_b32_e32 v76, 5, v152
	v_lshlrev_b32_e32 v77, 5, v149
	global_load_dwordx4 v[168:171], v76, s[8:9] offset:1280
	global_load_dwordx4 v[172:175], v77, s[8:9] offset:1280
	ds_read2_b64 v[94:97], v113 offset0:42 offset1:123
	global_load_dwordx4 v[176:179], v76, s[8:9] offset:1296
	global_load_dwordx4 v[180:183], v77, s[8:9] offset:1296
	v_mul_u32_u24_sdwa v76, v124, s10 dst_sel:DWORD dst_unused:UNUSED_PAD src0_sel:WORD_0 src1_sel:DWORD
	v_lshrrev_b32_e32 v154, 20, v76
	v_mul_lo_u16_e32 v76, 0x5a, v154
	v_sub_u16_e32 v153, v124, v76
	v_lshlrev_b32_e32 v98, 5, v153
	global_load_dwordx4 v[184:187], v98, s[8:9] offset:1280
	global_load_dwordx4 v[196:199], v98, s[8:9] offset:1296
	v_mul_u32_u24_sdwa v76, v119, s10 dst_sel:DWORD dst_unused:UNUSED_PAD src0_sel:WORD_0 src1_sel:DWORD
	v_lshrrev_b32_e32 v76, 20, v76
	v_mul_lo_u16_e32 v76, 0x5a, v76
	v_sub_u16_e32 v155, v119, v76
	v_lshlrev_b32_e32 v104, 5, v155
	global_load_dwordx4 v[188:191], v104, s[8:9] offset:1280
	global_load_dwordx4 v[200:203], v104, s[8:9] offset:1296
	ds_read2_b64 v[192:195], v114 offset0:84 offset1:165
	ds_read2_b64 v[204:207], v116 offset0:76 offset1:157
	v_cmp_lt_u32_e32 vcc, 8, v120
	v_lshl_add_u32 v155, v155, 3, 0
	s_movk_i32 s10, 0x1000
	s_waitcnt vmcnt(19) lgkmcnt(2)
	v_mul_f64 v[76:77], v[94:95], v[62:63]
	v_mul_f64 v[62:63], v[56:57], v[62:63]
	s_waitcnt vmcnt(18) lgkmcnt(1)
	v_mul_f64 v[98:99], v[192:193], v[66:67]
	v_fma_f64 v[208:209], v[56:57], v[60:61], v[76:77]
	v_mul_f64 v[56:57], v[52:53], v[66:67]
	v_fma_f64 v[210:211], v[94:95], v[60:61], -v[62:63]
	v_fma_f64 v[212:213], v[52:53], v[64:65], v[98:99]
	s_waitcnt vmcnt(17)
	v_mul_f64 v[66:67], v[96:97], v[70:71]
	s_waitcnt vmcnt(16)
	v_mul_f64 v[76:77], v[194:195], v[74:75]
	v_mul_f64 v[60:61], v[54:55], v[74:75]
	;; [unrolled: 1-line block ×3, first 2 shown]
	v_fma_f64 v[192:193], v[192:193], v[64:65], -v[56:57]
	s_waitcnt vmcnt(15) lgkmcnt(0)
	v_mul_f64 v[56:57], v[204:205], v[80:81]
	v_fma_f64 v[104:105], v[58:59], v[68:69], v[66:67]
	v_fma_f64 v[106:107], v[54:55], v[72:73], v[76:77]
	v_fma_f64 v[76:77], v[194:195], v[72:73], -v[60:61]
	s_waitcnt vmcnt(14)
	v_mul_f64 v[60:61], v[206:207], v[88:89]
	v_fma_f64 v[214:215], v[96:97], v[68:69], -v[70:71]
	v_mul_f64 v[62:63], v[48:49], v[80:81]
	ds_read2_b64 v[52:55], v115 offset0:118 offset1:199
	v_fma_f64 v[96:97], v[48:49], v[78:79], v[56:57]
	v_mul_f64 v[48:49], v[50:51], v[88:89]
	ds_read2_b64 v[56:59], v125 offset0:110 offset1:191
	s_waitcnt vmcnt(13)
	v_mul_f64 v[66:67], v[44:45], v[92:93]
	s_waitcnt lgkmcnt(1)
	v_mul_f64 v[64:65], v[52:53], v[92:93]
	v_fma_f64 v[92:93], v[50:51], v[86:87], v[60:61]
	v_fma_f64 v[194:195], v[204:205], v[78:79], -v[62:63]
	s_waitcnt vmcnt(11) lgkmcnt(0)
	v_mul_f64 v[60:61], v[56:57], v[110:111]
	v_mul_f64 v[62:63], v[54:55], v[102:103]
	;; [unrolled: 1-line block ×3, first 2 shown]
	v_fma_f64 v[204:205], v[206:207], v[86:87], -v[48:49]
	v_mul_f64 v[48:49], v[40:41], v[110:111]
	v_fma_f64 v[206:207], v[44:45], v[90:91], v[64:65]
	v_fma_f64 v[98:99], v[52:53], v[90:91], -v[66:67]
	s_waitcnt vmcnt(8)
	v_mul_f64 v[66:67], v[38:39], v[166:167]
	v_fma_f64 v[88:89], v[40:41], v[108:109], v[60:61]
	v_mul_f64 v[60:61], v[36:37], v[162:163]
	v_fma_f64 v[110:111], v[46:47], v[100:101], v[62:63]
	ds_read2_b64 v[44:47], v126 offset0:152 offset1:233
	v_fma_f64 v[100:101], v[54:55], v[100:101], -v[50:51]
	v_mul_f64 v[40:41], v[58:59], v[158:159]
	v_fma_f64 v[56:57], v[56:57], v[108:109], -v[48:49]
	ds_read2_b64 v[48:51], v129 offset0:16 offset1:97
	s_waitcnt lgkmcnt(1)
	v_mul_f64 v[54:55], v[44:45], v[162:163]
	v_mul_f64 v[64:65], v[46:47], v[166:167]
	v_fma_f64 v[62:63], v[44:45], v[160:161], -v[60:61]
	v_mul_f64 v[52:53], v[42:43], v[158:159]
	s_waitcnt vmcnt(6) lgkmcnt(0)
	v_mul_f64 v[44:45], v[50:51], v[174:175]
	v_fma_f64 v[90:91], v[42:43], v[156:157], v[40:41]
	v_mul_f64 v[40:41], v[48:49], v[170:171]
	v_mul_f64 v[42:43], v[32:33], v[170:171]
	v_fma_f64 v[60:61], v[46:47], v[164:165], -v[66:67]
	v_fma_f64 v[102:103], v[38:39], v[164:165], v[64:65]
	v_mul_f64 v[46:47], v[34:35], v[174:175]
	v_fma_f64 v[108:109], v[36:37], v[160:161], v[54:55]
	v_fma_f64 v[64:65], v[34:35], v[172:173], v[44:45]
	s_waitcnt vmcnt(4)
	v_mul_f64 v[34:35], v[30:31], v[182:183]
	ds_read2_b64 v[36:39], v130 offset0:58 offset1:139
	v_fma_f64 v[68:69], v[32:33], v[168:169], v[40:41]
	v_fma_f64 v[48:49], v[48:49], v[168:169], -v[42:43]
	ds_read2_b64 v[40:43], v132 offset0:50 offset1:131
	v_fma_f64 v[52:53], v[58:59], v[156:157], -v[52:53]
	s_waitcnt lgkmcnt(1)
	v_mul_f64 v[32:33], v[36:37], v[178:179]
	v_mul_f64 v[58:59], v[38:39], v[182:183]
	v_fma_f64 v[44:45], v[50:51], v[172:173], -v[46:47]
	s_waitcnt vmcnt(3) lgkmcnt(0)
	v_mul_f64 v[46:47], v[40:41], v[186:187]
	v_mul_f64 v[50:51], v[24:25], v[186:187]
	v_fma_f64 v[66:67], v[38:39], v[180:181], -v[34:35]
	v_add_f64 v[38:39], v[208:209], v[212:213]
	v_mul_f64 v[54:55], v[28:29], v[178:179]
	v_fma_f64 v[80:81], v[28:29], v[176:177], v[32:33]
	s_waitcnt vmcnt(1)
	v_mul_f64 v[32:33], v[42:43], v[190:191]
	v_fma_f64 v[70:71], v[30:31], v[180:181], v[58:59]
	v_fma_f64 v[72:73], v[24:25], v[184:185], v[46:47]
	v_fma_f64 v[40:41], v[40:41], v[184:185], -v[50:51]
	v_add_f64 v[46:47], v[16:17], v[208:209]
	v_fma_f64 v[16:17], v[38:39], -0.5, v[16:17]
	v_add_f64 v[50:51], v[210:211], -v[192:193]
	ds_read2_b64 v[28:31], v133 offset0:92 offset1:173
	v_fma_f64 v[74:75], v[36:37], v[176:177], -v[54:55]
	v_mul_f64 v[24:25], v[26:27], v[190:191]
	v_mul_f64 v[36:37], v[20:21], v[198:199]
	v_fma_f64 v[78:79], v[26:27], v[188:189], v[32:33]
	s_waitcnt lgkmcnt(0)
	v_mul_f64 v[34:35], v[28:29], v[198:199]
	s_waitcnt vmcnt(0)
	v_mul_f64 v[26:27], v[30:31], v[202:203]
	v_mul_f64 v[32:33], v[22:23], v[202:203]
	v_add_f64 v[46:47], v[46:47], v[212:213]
	v_fma_f64 v[54:55], v[50:51], s[4:5], v[16:17]
	v_add_f64 v[58:59], v[104:105], v[106:107]
	v_add_f64 v[160:161], v[210:211], v[192:193]
	v_fma_f64 v[42:43], v[42:43], v[188:189], -v[24:25]
	v_fma_f64 v[94:95], v[20:21], v[196:197], v[34:35]
	v_fma_f64 v[86:87], v[28:29], v[196:197], -v[36:37]
	v_fma_f64 v[156:157], v[22:23], v[200:201], v[26:27]
	v_fma_f64 v[158:159], v[30:31], v[200:201], -v[32:33]
	ds_read2_b64 v[20:23], v112 offset1:81
	ds_read2_b64 v[24:27], v112 offset0:162 offset1:243
	ds_read2_b64 v[28:31], v121 offset0:68 offset1:149
	;; [unrolled: 1-line block ×4, first 2 shown]
	s_waitcnt lgkmcnt(0)
	s_barrier
	v_add_f64 v[162:163], v[214:215], v[76:77]
	ds_write2_b64 v112, v[46:47], v[54:55] offset1:90
	v_fma_f64 v[16:17], v[50:51], s[6:7], v[16:17]
	v_fma_f64 v[46:47], v[58:59], -0.5, v[18:19]
	v_add_f64 v[18:19], v[18:19], v[104:105]
	v_add_f64 v[50:51], v[20:21], v[210:211]
	;; [unrolled: 1-line block ×3, first 2 shown]
	v_fma_f64 v[160:161], v[160:161], -0.5, v[20:21]
	v_add_f64 v[20:21], v[214:215], -v[76:77]
	v_fma_f64 v[162:163], v[162:163], -0.5, v[22:23]
	v_add_f64 v[164:165], v[22:23], v[214:215]
	ds_write_b64 v112, v[16:17] offset:1440
	v_add_f64 v[16:17], v[12:13], v[96:97]
	v_add_f64 v[22:23], v[194:195], -v[98:99]
	v_fma_f64 v[12:13], v[54:55], -0.5, v[12:13]
	v_add_f64 v[18:19], v[18:19], v[106:107]
	v_fma_f64 v[54:55], v[20:21], s[4:5], v[46:47]
	v_fma_f64 v[20:21], v[20:21], s[6:7], v[46:47]
	v_mov_b32_e32 v58, 0x870
	v_cndmask_b32_e32 v58, 0, v58, vcc
	v_lshlrev_b32_e32 v59, 3, v140
	v_add3_u32 v190, 0, v58, v59
	v_add_f64 v[16:17], v[16:17], v[206:207]
	v_fma_f64 v[46:47], v[22:23], s[4:5], v[12:13]
	ds_write2_b64 v190, v[18:19], v[54:55] offset1:90
	ds_write_b64 v190, v[20:21] offset:1440
	v_add_f64 v[18:19], v[92:93], v[110:111]
	v_lshlrev_b32_sdwa v20, v138, v142 dst_sel:DWORD dst_unused:UNUSED_PAD src0_sel:DWORD src1_sel:BYTE_0
	v_mul_u32_u24_e32 v21, 0x870, v141
	v_add3_u32 v138, 0, v21, v20
	v_add_f64 v[20:21], v[204:205], v[100:101]
	v_fma_f64 v[12:13], v[22:23], s[6:7], v[12:13]
	ds_write2_b64 v138, v[16:17], v[46:47] offset1:90
	v_add_f64 v[16:17], v[194:195], v[98:99]
	v_fma_f64 v[18:19], v[18:19], -0.5, v[14:15]
	v_add_f64 v[22:23], v[88:89], v[108:109]
	v_add_f64 v[14:15], v[14:15], v[92:93]
	v_add_f64 v[46:47], v[204:205], -v[100:101]
	v_fma_f64 v[168:169], v[20:21], -0.5, v[26:27]
	v_add_f64 v[20:21], v[56:57], -v[62:63]
	v_add_f64 v[140:141], v[24:25], v[194:195]
	v_fma_f64 v[166:167], v[16:17], -0.5, v[24:25]
	v_add_f64 v[16:17], v[8:9], v[88:89]
	v_fma_f64 v[8:9], v[22:23], -0.5, v[8:9]
	v_add_f64 v[14:15], v[14:15], v[110:111]
	v_fma_f64 v[22:23], v[46:47], s[4:5], v[18:19]
	ds_write_b64 v138, v[12:13] offset:1440
	v_fma_f64 v[12:13], v[46:47], s[6:7], v[18:19]
	v_mul_u32_u24_e32 v24, 0x870, v143
	v_lshlrev_b32_e32 v25, 3, v144
	v_add3_u32 v191, 0, v24, v25
	v_add_f64 v[16:17], v[16:17], v[108:109]
	v_fma_f64 v[18:19], v[20:21], s[4:5], v[8:9]
	ds_write2_b64 v191, v[14:15], v[22:23] offset1:90
	v_add_f64 v[14:15], v[90:91], v[102:103]
	ds_write_b64 v191, v[12:13] offset:1440
	v_mul_u32_u24_e32 v12, 0x870, v147
	v_lshlrev_b32_e32 v13, 3, v148
	v_add3_u32 v194, 0, v12, v13
	v_add_f64 v[12:13], v[56:57], v[62:63]
	ds_write2_b64 v194, v[16:17], v[18:19] offset1:90
	v_add_f64 v[16:17], v[52:53], v[60:61]
	v_fma_f64 v[14:15], v[14:15], -0.5, v[10:11]
	v_add_f64 v[10:11], v[10:11], v[90:91]
	v_add_f64 v[18:19], v[52:53], -v[60:61]
	v_fma_f64 v[8:9], v[20:21], s[6:7], v[8:9]
	v_add_f64 v[20:21], v[68:69], v[80:81]
	v_fma_f64 v[147:148], v[12:13], -0.5, v[28:29]
	v_add_f64 v[186:187], v[208:209], -v[212:213]
	v_fma_f64 v[172:173], v[16:17], -0.5, v[30:31]
	v_add_f64 v[16:17], v[4:5], v[68:69]
	v_add_f64 v[10:11], v[10:11], v[102:103]
	v_fma_f64 v[12:13], v[18:19], s[4:5], v[14:15]
	v_fma_f64 v[14:15], v[18:19], s[6:7], v[14:15]
	v_fma_f64 v[4:5], v[20:21], -0.5, v[4:5]
	v_add_f64 v[20:21], v[48:49], -v[74:75]
	ds_write_b64 v194, v[8:9] offset:1440
	v_mul_u32_u24_e32 v8, 0x870, v145
	v_lshlrev_b32_e32 v9, 3, v146
	v_add3_u32 v146, 0, v8, v9
	ds_write2_b64 v146, v[10:11], v[12:13] offset1:90
	v_add_f64 v[8:9], v[16:17], v[80:81]
	v_add_f64 v[12:13], v[64:65], v[70:71]
	v_fma_f64 v[10:11], v[20:21], s[4:5], v[4:5]
	ds_write_b64 v146, v[14:15] offset:1440
	v_mul_u32_u24_e32 v14, 0x870, v151
	v_lshlrev_b32_e32 v15, 3, v152
	v_add3_u32 v195, 0, v14, v15
	v_add_f64 v[14:15], v[48:49], v[74:75]
	v_fma_f64 v[4:5], v[20:21], s[6:7], v[4:5]
	v_add_f64 v[16:17], v[44:45], v[66:67]
	ds_write2_b64 v195, v[8:9], v[10:11] offset1:90
	v_fma_f64 v[8:9], v[12:13], -0.5, v[6:7]
	v_add_f64 v[6:7], v[6:7], v[64:65]
	v_add_f64 v[10:11], v[44:45], -v[66:67]
	v_add_f64 v[12:13], v[72:73], v[94:95]
	v_fma_f64 v[151:152], v[14:15], -0.5, v[32:33]
	ds_write_b64 v195, v[4:5] offset:1440
	v_add_f64 v[14:15], v[78:79], v[156:157]
	v_fma_f64 v[176:177], v[16:17], -0.5, v[34:35]
	v_mul_u32_u24_e32 v16, 0x870, v150
	v_add_f64 v[4:5], v[6:7], v[70:71]
	v_fma_f64 v[6:7], v[10:11], s[4:5], v[8:9]
	v_fma_f64 v[8:9], v[10:11], s[6:7], v[8:9]
	v_add_f64 v[10:11], v[0:1], v[72:73]
	v_fma_f64 v[0:1], v[12:13], -0.5, v[0:1]
	v_add_f64 v[12:13], v[40:41], -v[86:87]
	v_lshlrev_b32_e32 v17, 3, v149
	v_add3_u32 v196, 0, v16, v17
	ds_write2_b64 v196, v[4:5], v[6:7] offset1:90
	ds_write_b64 v196, v[8:9] offset:1440
	v_fma_f64 v[8:9], v[14:15], -0.5, v[2:3]
	v_add_f64 v[4:5], v[10:11], v[94:95]
	v_add_f64 v[2:3], v[2:3], v[78:79]
	v_fma_f64 v[6:7], v[12:13], s[4:5], v[0:1]
	v_add_f64 v[10:11], v[42:43], -v[158:159]
	v_add_f64 v[104:105], v[104:105], -v[106:107]
	v_mul_u32_u24_e32 v18, 0x870, v154
	v_lshlrev_b32_e32 v19, 3, v153
	v_add3_u32 v197, 0, v18, v19
	v_add_f64 v[14:15], v[40:41], v[86:87]
	v_add_f64 v[16:17], v[42:43], v[158:159]
	ds_write2_b64 v197, v[4:5], v[6:7] offset1:90
	v_fma_f64 v[0:1], v[12:13], s[6:7], v[0:1]
	v_add_f64 v[2:3], v[2:3], v[156:157]
	v_fma_f64 v[4:5], v[10:11], s[4:5], v[8:9]
	v_fma_f64 v[6:7], v[10:11], s[6:7], v[8:9]
	v_add_f64 v[184:185], v[50:51], v[192:193]
	v_fma_f64 v[188:189], v[186:187], s[6:7], v[160:161]
	v_fma_f64 v[106:107], v[186:187], s[4:5], v[160:161]
	v_add_f64 v[92:93], v[92:93], -v[110:111]
	v_add_f64 v[76:77], v[164:165], v[76:77]
	v_fma_f64 v[110:111], v[104:105], s[6:7], v[162:163]
	v_fma_f64 v[104:105], v[104:105], s[4:5], v[162:163]
	v_add_f64 v[170:171], v[26:27], v[204:205]
	v_add_u32_e32 v198, 0x4000, v155
	v_add_f64 v[96:97], v[96:97], -v[206:207]
	v_add_f64 v[142:143], v[28:29], v[56:57]
	v_add_f64 v[174:175], v[30:31], v[52:53]
	;; [unrolled: 1-line block ×5, first 2 shown]
	v_fma_f64 v[153:154], v[14:15], -0.5, v[36:37]
	v_fma_f64 v[180:181], v[16:17], -0.5, v[38:39]
	v_add_f64 v[182:183], v[38:39], v[42:43]
	ds_write_b64 v197, v[0:1] offset:1440
	ds_write2_b64 v198, v[2:3], v[4:5] offset0:112 offset1:202
	ds_write_b64 v155, v[6:7] offset:18720
	s_waitcnt lgkmcnt(0)
	s_barrier
	ds_read2_b64 v[16:19], v112 offset1:81
	ds_read2_b64 v[56:59], v113 offset0:42 offset1:123
	ds_read2_b64 v[52:55], v114 offset0:84 offset1:165
	;; [unrolled: 1-line block ×14, first 2 shown]
	s_waitcnt lgkmcnt(0)
	s_barrier
	ds_write2_b64 v112, v[184:185], v[188:189] offset1:90
	ds_write_b64 v112, v[106:107] offset:1440
	ds_write2_b64 v190, v[76:77], v[110:111] offset1:90
	ds_write_b64 v190, v[104:105] offset:1440
	v_add_f64 v[76:77], v[88:89], -v[108:109]
	v_add_f64 v[88:89], v[90:91], -v[102:103]
	v_add_f64 v[98:99], v[140:141], v[98:99]
	v_fma_f64 v[140:141], v[96:97], s[6:7], v[166:167]
	v_add_f64 v[100:101], v[170:171], v[100:101]
	v_fma_f64 v[160:161], v[92:93], s[6:7], v[168:169]
	v_fma_f64 v[90:91], v[92:93], s[4:5], v[168:169]
	v_fma_f64 v[96:97], v[96:97], s[4:5], v[166:167]
	v_add_f64 v[68:69], v[68:69], -v[80:81]
	v_add_f64 v[62:63], v[142:143], v[62:63]
	v_fma_f64 v[80:81], v[76:77], s[6:7], v[147:148]
	v_fma_f64 v[76:77], v[76:77], s[4:5], v[147:148]
	v_add_f64 v[60:61], v[174:175], v[60:61]
	v_fma_f64 v[92:93], v[88:89], s[6:7], v[172:173]
	v_fma_f64 v[88:89], v[88:89], s[4:5], v[172:173]
	ds_write2_b64 v138, v[98:99], v[140:141] offset1:90
	ds_write_b64 v138, v[96:97] offset:1440
	ds_write2_b64 v191, v[100:101], v[160:161] offset1:90
	ds_write_b64 v191, v[90:91] offset:1440
	;; [unrolled: 2-line block ×3, first 2 shown]
	v_add_f64 v[62:63], v[64:65], -v[70:71]
	v_add_f64 v[74:75], v[144:145], v[74:75]
	v_fma_f64 v[96:97], v[68:69], s[6:7], v[151:152]
	ds_write2_b64 v146, v[60:61], v[92:93] offset1:90
	ds_write_b64 v146, v[88:89] offset:1440
	v_add_f64 v[60:61], v[72:73], -v[94:95]
	v_fma_f64 v[64:65], v[68:69], s[4:5], v[151:152]
	v_add_f64 v[68:69], v[78:79], -v[156:157]
	v_add_f64 v[66:67], v[178:179], v[66:67]
	v_fma_f64 v[70:71], v[62:63], s[6:7], v[176:177]
	v_fma_f64 v[62:63], v[62:63], s[4:5], v[176:177]
	ds_write2_b64 v195, v[74:75], v[96:97] offset1:90
	v_add_f64 v[72:73], v[149:150], v[86:87]
	v_fma_f64 v[74:75], v[60:61], s[6:7], v[153:154]
	v_fma_f64 v[60:61], v[60:61], s[4:5], v[153:154]
	v_add_f64 v[76:77], v[182:183], v[158:159]
	v_fma_f64 v[78:79], v[68:69], s[6:7], v[180:181]
	v_fma_f64 v[68:69], v[68:69], s[4:5], v[180:181]
	ds_write_b64 v195, v[64:65] offset:1440
	ds_write2_b64 v196, v[66:67], v[70:71] offset1:90
	ds_write_b64 v196, v[62:63] offset:1440
	ds_write2_b64 v197, v[72:73], v[74:75] offset1:90
	ds_write_b64 v197, v[60:61] offset:1440
	ds_write2_b64 v198, v[76:77], v[78:79] offset0:112 offset1:202
	ds_write_b64 v155, v[68:69] offset:18720
	v_lshlrev_b32_e32 v64, 1, v136
	v_mov_b32_e32 v65, v83
	v_add_co_u32_e32 v60, vcc, s10, v84
	v_lshlrev_b64 v[64:65], 4, v[64:65]
	v_addc_co_u32_e32 v61, vcc, 0, v85, vcc
	v_add_co_u32_e32 v88, vcc, s8, v64
	v_addc_co_u32_e32 v89, vcc, v139, v65, vcc
	v_add_co_u32_e32 v64, vcc, s10, v88
	;; [unrolled: 2-line block ×3, first 2 shown]
	v_addc_co_u32_e32 v73, vcc, 0, v85, vcc
	s_waitcnt lgkmcnt(0)
	s_barrier
	global_load_dwordx4 v[76:79], v[72:73], off offset:16
	v_add_co_u32_e32 v72, vcc, s11, v88
	v_addc_co_u32_e32 v73, vcc, 0, v89, vcc
	global_load_dwordx4 v[92:95], v[72:73], off offset:16
	v_lshlrev_b32_e32 v72, 1, v137
	v_mov_b32_e32 v73, v83
	v_lshlrev_b64 v[72:73], 4, v[72:73]
	global_load_dwordx4 v[60:63], v[60:61], off offset:64
	v_add_co_u32_e32 v90, vcc, s8, v72
	global_load_dwordx4 v[64:67], v[64:65], off offset:64
	v_addc_co_u32_e32 v91, vcc, v139, v73, vcc
	v_add_co_u32_e32 v73, vcc, s10, v90
	v_addc_co_u32_e32 v74, vcc, 0, v91, vcc
	v_subrev_u32_e32 v72, 27, v120
	v_cmp_gt_u32_e32 vcc, 27, v120
	v_cndmask_b32_e32 v72, v72, v128, vcc
	v_lshlrev_b32_e32 v96, 1, v72
	v_mov_b32_e32 v97, v83
	v_lshlrev_b64 v[96:97], 4, v[96:97]
	ds_read2_b64 v[68:71], v113 offset0:42 offset1:123
	v_add_co_u32_e32 v75, vcc, s8, v96
	v_addc_co_u32_e32 v106, vcc, v139, v97, vcc
	v_add_co_u32_e32 v104, vcc, s10, v75
	v_addc_co_u32_e32 v105, vcc, 0, v106, vcc
	;; [unrolled: 2-line block ×3, first 2 shown]
	global_load_dwordx4 v[96:99], v[73:74], off offset:64
	s_nop 0
	global_load_dwordx4 v[100:103], v[100:101], off offset:16
	v_add_co_u32_e32 v73, vcc, s11, v75
	v_addc_co_u32_e32 v74, vcc, 0, v106, vcc
	global_load_dwordx4 v[104:107], v[104:105], off offset:64
	s_nop 0
	global_load_dwordx4 v[108:111], v[73:74], off offset:16
	v_add_u32_e32 v73, 0x6c, v82
	v_mov_b32_e32 v74, v83
	v_lshlrev_b64 v[73:74], 4, v[73:74]
	v_add_u32_e32 v82, 0x10e, v82
	v_add_co_u32_e32 v75, vcc, s8, v73
	v_addc_co_u32_e32 v138, vcc, v139, v74, vcc
	v_add_co_u32_e32 v73, vcc, s10, v75
	v_lshlrev_b64 v[136:137], 4, v[82:83]
	v_addc_co_u32_e32 v74, vcc, 0, v138, vcc
	v_add_co_u32_e32 v82, vcc, s8, v136
	v_addc_co_u32_e32 v148, vcc, v139, v137, vcc
	v_add_co_u32_e32 v136, vcc, s10, v82
	;; [unrolled: 2-line block ×3, first 2 shown]
	v_addc_co_u32_e32 v145, vcc, 0, v138, vcc
	global_load_dwordx4 v[140:143], v[73:74], off offset:64
	s_nop 0
	global_load_dwordx4 v[144:147], v[144:145], off offset:16
	v_add_co_u32_e32 v73, vcc, s11, v82
	v_addc_co_u32_e32 v74, vcc, 0, v148, vcc
	global_load_dwordx4 v[148:151], v[136:137], off offset:64
	global_load_dwordx4 v[152:155], v[73:74], off offset:16
	v_mul_u32_u24_sdwa v73, v118, s12 dst_sel:DWORD dst_unused:UNUSED_PAD src0_sel:WORD_0 src1_sel:DWORD
	v_lshrrev_b32_e32 v74, 23, v73
	v_mul_lo_u16_e32 v73, 0x10e, v74
	v_sub_u16_e32 v73, v118, v73
	v_lshlrev_b32_e32 v75, 5, v73
	v_add_co_u32_e32 v82, vcc, s8, v75
	v_mul_u32_u24_sdwa v75, v135, s12 dst_sel:DWORD dst_unused:UNUSED_PAD src0_sel:WORD_0 src1_sel:DWORD
	v_lshrrev_b32_e32 v75, 23, v75
	v_addc_co_u32_e32 v138, vcc, 0, v139, vcc
	v_mul_lo_u16_e32 v75, 0x10e, v75
	v_add_co_u32_e32 v136, vcc, s10, v82
	v_sub_u16_e32 v75, v135, v75
	v_addc_co_u32_e32 v137, vcc, 0, v138, vcc
	v_lshlrev_b32_e32 v156, 5, v75
	v_add_co_u32_e32 v166, vcc, s8, v156
	v_addc_co_u32_e32 v167, vcc, 0, v139, vcc
	v_add_co_u32_e32 v164, vcc, s10, v166
	v_addc_co_u32_e32 v165, vcc, 0, v167, vcc
	v_add_co_u32_e32 v160, vcc, s11, v82
	v_mul_u32_u24_sdwa v82, v124, s12 dst_sel:DWORD dst_unused:UNUSED_PAD src0_sel:WORD_0 src1_sel:DWORD
	v_lshrrev_b32_e32 v82, 23, v82
	v_addc_co_u32_e32 v161, vcc, 0, v138, vcc
	v_mul_lo_u16_e32 v82, 0x10e, v82
	global_load_dwordx4 v[156:159], v[136:137], off offset:64
	s_nop 0
	global_load_dwordx4 v[160:163], v[160:161], off offset:16
	v_add_co_u32_e32 v136, vcc, s11, v166
	v_sub_u16_e32 v82, v124, v82
	v_addc_co_u32_e32 v137, vcc, 0, v167, vcc
	global_load_dwordx4 v[164:167], v[164:165], off offset:64
	s_nop 0
	global_load_dwordx4 v[168:171], v[136:137], off offset:16
	v_lshlrev_b32_e32 v136, 5, v82
	v_add_co_u32_e32 v180, vcc, s8, v136
	v_addc_co_u32_e32 v181, vcc, 0, v139, vcc
	v_add_co_u32_e32 v136, vcc, s10, v180
	v_addc_co_u32_e32 v137, vcc, 0, v181, vcc
	global_load_dwordx4 v[172:175], v[136:137], off offset:64
	v_mul_u32_u24_sdwa v136, v119, s12 dst_sel:DWORD dst_unused:UNUSED_PAD src0_sel:WORD_0 src1_sel:DWORD
	v_lshrrev_b32_e32 v136, 23, v136
	v_mul_lo_u16_e32 v136, 0x10e, v136
	v_sub_u16_e32 v216, v119, v136
	v_lshlrev_b32_e32 v136, 5, v216
	v_add_co_u32_e32 v184, vcc, s8, v136
	v_addc_co_u32_e32 v185, vcc, 0, v139, vcc
	v_add_co_u32_e32 v136, vcc, s10, v184
	v_addc_co_u32_e32 v137, vcc, 0, v185, vcc
	global_load_dwordx4 v[136:139], v[136:137], off offset:64
	v_add_co_u32_e32 v180, vcc, s11, v180
	v_addc_co_u32_e32 v181, vcc, 0, v181, vcc
	global_load_dwordx4 v[180:183], v[180:181], off offset:16
	;; [unrolled: 3-line block ×3, first 2 shown]
	s_waitcnt vmcnt(16) lgkmcnt(0)
	v_mul_f64 v[86:87], v[70:71], v[66:67]
	v_mul_f64 v[66:67], v[58:59], v[66:67]
	;; [unrolled: 1-line block ×4, first 2 shown]
	ds_read2_b64 v[176:179], v114 offset0:84 offset1:165
	v_cmp_lt_u32_e32 vcc, 26, v120
	v_lshl_add_u32 v82, v82, 3, 0
	s_movk_i32 s11, 0x3000
	v_fma_f64 v[194:195], v[58:59], v[64:65], v[86:87]
	v_fma_f64 v[196:197], v[70:71], v[64:65], -v[66:67]
	v_mul_f64 v[64:65], v[52:53], v[78:79]
	s_waitcnt lgkmcnt(0)
	v_mul_f64 v[188:189], v[176:177], v[78:79]
	v_fma_f64 v[190:191], v[56:57], v[60:61], v[80:81]
	v_fma_f64 v[192:193], v[68:69], v[60:61], -v[62:63]
	ds_read2_b64 v[60:63], v115 offset0:118 offset1:199
	ds_read2_b64 v[56:59], v116 offset0:76 offset1:157
	v_mul_f64 v[66:67], v[54:55], v[94:95]
	s_waitcnt vmcnt(15)
	v_mul_f64 v[70:71], v[48:49], v[98:99]
	v_fma_f64 v[176:177], v[176:177], v[76:77], -v[64:65]
	s_waitcnt vmcnt(14) lgkmcnt(1)
	v_mul_f64 v[64:65], v[60:61], v[102:103]
	s_waitcnt lgkmcnt(0)
	v_mul_f64 v[68:69], v[56:57], v[98:99]
	s_waitcnt vmcnt(13)
	v_mul_f64 v[80:81], v[58:59], v[106:107]
	v_fma_f64 v[78:79], v[52:53], v[76:77], v[188:189]
	v_mul_f64 v[52:53], v[178:179], v[94:95]
	v_mul_f64 v[86:87], v[50:51], v[106:107]
	v_fma_f64 v[178:179], v[178:179], v[92:93], -v[66:67]
	s_waitcnt vmcnt(11)
	v_mul_f64 v[66:67], v[40:41], v[142:143]
	v_fma_f64 v[206:207], v[44:45], v[100:101], v[64:65]
	v_mul_f64 v[44:45], v[44:45], v[102:103]
	v_fma_f64 v[198:199], v[48:49], v[96:97], v[68:69]
	v_fma_f64 v[202:203], v[50:51], v[104:105], v[80:81]
	ds_read2_b64 v[48:51], v125 offset0:110 offset1:191
	v_fma_f64 v[188:189], v[54:55], v[92:93], v[52:53]
	ds_read2_b64 v[52:55], v126 offset0:152 offset1:233
	v_fma_f64 v[200:201], v[56:57], v[96:97], -v[70:71]
	v_fma_f64 v[204:205], v[58:59], v[104:105], -v[86:87]
	s_waitcnt lgkmcnt(1)
	v_mul_f64 v[64:65], v[48:49], v[142:143]
	s_waitcnt vmcnt(9)
	v_mul_f64 v[68:69], v[50:51], v[150:151]
	v_fma_f64 v[142:143], v[60:61], v[100:101], -v[44:45]
	s_waitcnt lgkmcnt(0)
	v_mul_f64 v[44:45], v[52:53], v[146:147]
	v_mul_f64 v[56:57], v[62:63], v[110:111]
	;; [unrolled: 1-line block ×4, first 2 shown]
	ds_read2_b64 v[92:95], v112 offset1:81
	v_fma_f64 v[210:211], v[40:41], v[140:141], v[64:65]
	v_fma_f64 v[212:213], v[42:43], v[148:149], v[68:69]
	ds_read2_b64 v[40:43], v129 offset0:16 offset1:97
	v_fma_f64 v[214:215], v[36:37], v[144:145], v[44:45]
	v_mul_f64 v[36:37], v[36:37], v[146:147]
	v_fma_f64 v[150:151], v[46:47], v[108:109], v[56:57]
	v_fma_f64 v[208:209], v[62:63], v[108:109], -v[58:59]
	v_fma_f64 v[140:141], v[48:49], v[140:141], -v[66:67]
	;; [unrolled: 1-line block ×3, first 2 shown]
	s_waitcnt vmcnt(8)
	v_mul_f64 v[44:45], v[54:55], v[154:155]
	v_mul_f64 v[46:47], v[38:39], v[154:155]
	s_waitcnt vmcnt(7) lgkmcnt(0)
	v_mul_f64 v[56:57], v[40:41], v[158:159]
	v_mul_f64 v[58:59], v[32:33], v[158:159]
	s_waitcnt vmcnt(5)
	v_mul_f64 v[60:61], v[42:43], v[166:167]
	ds_read2_b64 v[48:51], v130 offset0:58 offset1:139
	v_mul_f64 v[62:63], v[34:35], v[166:167]
	v_fma_f64 v[144:145], v[52:53], v[144:145], -v[36:37]
	v_fma_f64 v[146:147], v[38:39], v[152:153], v[44:45]
	v_fma_f64 v[152:153], v[54:55], v[152:153], -v[46:47]
	s_waitcnt lgkmcnt(0)
	v_mul_f64 v[36:37], v[48:49], v[162:163]
	v_fma_f64 v[46:47], v[32:33], v[156:157], v[56:57]
	v_fma_f64 v[66:67], v[40:41], v[156:157], -v[58:59]
	v_fma_f64 v[44:45], v[34:35], v[164:165], v[60:61]
	ds_read2_b64 v[32:35], v132 offset0:50 offset1:131
	s_waitcnt vmcnt(4)
	v_mul_f64 v[40:41], v[50:51], v[170:171]
	v_fma_f64 v[60:61], v[42:43], v[164:165], -v[62:63]
	v_mul_f64 v[38:39], v[24:25], v[162:163]
	v_fma_f64 v[62:63], v[24:25], v[160:161], v[36:37]
	s_waitcnt vmcnt(3) lgkmcnt(0)
	v_mul_f64 v[36:37], v[32:33], v[174:175]
	s_waitcnt vmcnt(2)
	v_mul_f64 v[54:55], v[34:35], v[138:139]
	v_mul_f64 v[76:77], v[30:31], v[138:139]
	v_mul_f64 v[42:43], v[26:27], v[170:171]
	v_fma_f64 v[68:69], v[26:27], v[168:169], v[40:41]
	ds_read2_b64 v[24:27], v133 offset0:92 offset1:173
	v_mul_f64 v[52:53], v[28:29], v[174:175]
	v_fma_f64 v[58:59], v[48:49], v[160:161], -v[38:39]
	v_fma_f64 v[70:71], v[28:29], v[172:173], v[36:37]
	v_fma_f64 v[64:65], v[30:31], v[136:137], v[54:55]
	s_waitcnt vmcnt(1) lgkmcnt(0)
	v_mul_f64 v[28:29], v[24:25], v[182:183]
	v_fma_f64 v[86:87], v[34:35], v[136:137], -v[76:77]
	v_mul_f64 v[30:31], v[20:21], v[182:183]
	s_waitcnt vmcnt(0)
	v_mul_f64 v[34:35], v[22:23], v[186:187]
	v_add_f64 v[36:37], v[190:191], v[78:79]
	v_add_f64 v[38:39], v[194:195], v[188:189]
	v_fma_f64 v[56:57], v[50:51], v[168:169], -v[42:43]
	v_fma_f64 v[80:81], v[32:33], v[172:173], -v[52:53]
	v_mul_f64 v[32:33], v[26:27], v[186:187]
	v_add_f64 v[40:41], v[16:17], v[190:191]
	v_add_f64 v[42:43], v[18:19], v[194:195]
	v_fma_f64 v[136:137], v[20:21], v[180:181], v[28:29]
	v_add_f64 v[28:29], v[198:199], v[206:207]
	v_fma_f64 v[138:139], v[24:25], v[180:181], -v[30:31]
	v_fma_f64 v[156:157], v[26:27], v[184:185], -v[34:35]
	v_fma_f64 v[16:17], v[36:37], -0.5, v[16:17]
	v_fma_f64 v[18:19], v[38:39], -0.5, v[18:19]
	v_add_f64 v[24:25], v[192:193], -v[176:177]
	v_add_f64 v[26:27], v[196:197], -v[178:179]
	v_add_f64 v[36:37], v[202:203], v[150:151]
	v_fma_f64 v[154:155], v[22:23], v[184:185], v[32:33]
	v_add_f64 v[20:21], v[40:41], v[78:79]
	v_add_f64 v[22:23], v[42:43], v[188:189]
	;; [unrolled: 1-line block ×3, first 2 shown]
	v_fma_f64 v[12:13], v[28:29], -0.5, v[12:13]
	v_add_f64 v[28:29], v[200:201], -v[142:143]
	v_fma_f64 v[30:31], v[24:25], s[6:7], v[16:17]
	v_fma_f64 v[32:33], v[26:27], s[6:7], v[18:19]
	;; [unrolled: 1-line block ×3, first 2 shown]
	v_fma_f64 v[24:25], v[36:37], -0.5, v[14:15]
	v_add_f64 v[14:15], v[14:15], v[202:203]
	ds_read2_b64 v[96:99], v112 offset0:162 offset1:243
	ds_read2_b64 v[100:103], v121 offset0:68 offset1:149
	;; [unrolled: 1-line block ×4, first 2 shown]
	s_waitcnt lgkmcnt(0)
	s_barrier
	ds_write2_b64 v112, v[20:21], v[22:23] offset1:81
	ds_write2_b64 v131, v[30:31], v[32:33] offset0:28 offset1:109
	v_add_f64 v[20:21], v[34:35], v[206:207]
	v_fma_f64 v[18:19], v[26:27], s[4:5], v[18:19]
	v_fma_f64 v[22:23], v[28:29], s[4:5], v[12:13]
	v_add_f64 v[30:31], v[210:211], v[214:215]
	v_add_f64 v[32:33], v[212:213], v[146:147]
	v_fma_f64 v[12:13], v[28:29], s[6:7], v[12:13]
	v_add_f64 v[26:27], v[204:205], -v[208:209]
	v_add_f64 v[14:15], v[14:15], v[150:151]
	v_add_u32_e32 v172, 0x400, v112
	ds_write2_b64 v172, v[20:21], v[16:17] offset0:34 offset1:142
	ds_write2_b64 v121, v[18:19], v[22:23] offset0:95 offset1:176
	v_fma_f64 v[20:21], v[30:31], -0.5, v[8:9]
	v_fma_f64 v[22:23], v[32:33], -0.5, v[10:11]
	v_add_f64 v[8:9], v[8:9], v[210:211]
	v_add_f64 v[10:11], v[10:11], v[212:213]
	ds_write_b64 v112, v[12:13] offset:5616
	v_mov_b32_e32 v12, 0x1950
	v_cndmask_b32_e32 v12, 0, v12, vcc
	v_lshlrev_b32_e32 v13, 3, v72
	v_add3_u32 v173, 0, v12, v13
	v_fma_f64 v[16:17], v[26:27], s[4:5], v[24:25]
	ds_write_b64 v173, v[14:15]
	v_add_f64 v[12:13], v[140:141], -v[144:145]
	v_add_f64 v[14:15], v[148:149], -v[152:153]
	v_fma_f64 v[18:19], v[26:27], s[6:7], v[24:25]
	v_add_f64 v[8:9], v[8:9], v[214:215]
	v_add_f64 v[10:11], v[10:11], v[146:147]
	ds_write_b64 v173, v[16:17] offset:2160
	ds_write_b64 v173, v[18:19] offset:4320
	v_add_f64 v[16:17], v[46:47], v[62:63]
	v_fma_f64 v[18:19], v[12:13], s[4:5], v[20:21]
	v_fma_f64 v[24:25], v[14:15], s[4:5], v[22:23]
	v_lshl_add_u32 v26, v120, 3, 0
	v_add_u32_e32 v174, 0x1800, v26
	ds_write2_b64 v174, v[8:9], v[10:11] offset0:96 offset1:177
	v_fma_f64 v[8:9], v[12:13], s[6:7], v[20:21]
	v_fma_f64 v[10:11], v[14:15], s[6:7], v[22:23]
	v_add_u32_e32 v175, 0x2000, v26
	v_fma_f64 v[12:13], v[16:17], -0.5, v[4:5]
	v_add_f64 v[16:17], v[44:45], v[68:69]
	ds_write2_b64 v175, v[18:19], v[24:25] offset0:110 offset1:191
	v_add_f64 v[18:19], v[70:71], v[136:137]
	v_add_u32_e32 v180, 0x2800, v26
	v_add_f64 v[14:15], v[66:67], -v[58:59]
	ds_write2_b64 v180, v[8:9], v[10:11] offset0:124 offset1:205
	v_add_f64 v[10:11], v[64:65], v[154:155]
	v_add_f64 v[4:5], v[4:5], v[46:47]
	v_fma_f64 v[16:17], v[16:17], -0.5, v[6:7]
	v_add_f64 v[6:7], v[6:7], v[44:45]
	v_fma_f64 v[18:19], v[18:19], -0.5, v[0:1]
	v_add_f64 v[0:1], v[0:1], v[70:71]
	v_add_f64 v[20:21], v[60:61], -v[56:57]
	v_fma_f64 v[8:9], v[14:15], s[4:5], v[12:13]
	v_add_f64 v[22:23], v[80:81], -v[138:139]
	v_fma_f64 v[12:13], v[14:15], s[6:7], v[12:13]
	v_fma_f64 v[10:11], v[10:11], -0.5, v[2:3]
	v_add_f64 v[14:15], v[86:87], -v[156:157]
	v_add_f64 v[4:5], v[4:5], v[62:63]
	v_add_f64 v[6:7], v[6:7], v[68:69]
	;; [unrolled: 1-line block ×3, first 2 shown]
	v_fma_f64 v[24:25], v[20:21], s[4:5], v[16:17]
	v_fma_f64 v[16:17], v[20:21], s[6:7], v[16:17]
	;; [unrolled: 1-line block ×6, first 2 shown]
	v_mul_u32_u24_e32 v14, 0x1950, v74
	v_lshlrev_b32_e32 v15, 3, v73
	v_add3_u32 v181, 0, v14, v15
	ds_write_b64 v181, v[4:5]
	ds_write_b64 v181, v[8:9] offset:2160
	v_add_f64 v[4:5], v[96:97], v[200:201]
	v_lshl_add_u32 v182, v75, 3, 0
	ds_write_b64 v181, v[12:13] offset:4320
	ds_write_b64 v182, v[6:7] offset:12960
	;; [unrolled: 1-line block ×5, first 2 shown]
	v_add_f64 v[0:1], v[192:193], v[176:177]
	v_add_f64 v[164:165], v[196:197], v[178:179]
	;; [unrolled: 1-line block ×6, first 2 shown]
	v_add_f64 v[158:159], v[190:191], -v[78:79]
	v_add_f64 v[170:171], v[204:205], v[208:209]
	v_fma_f64 v[160:161], v[0:1], -0.5, v[92:93]
	v_add_f64 v[92:93], v[92:93], v[192:193]
	v_fma_f64 v[94:95], v[164:165], -0.5, v[94:95]
	v_add_f64 v[164:165], v[194:195], -v[188:189]
	v_fma_f64 v[96:97], v[142:143], -0.5, v[96:97]
	v_add_f64 v[142:143], v[198:199], -v[206:207]
	v_add_f64 v[2:3], v[2:3], v[154:155]
	v_add_f64 v[166:167], v[166:167], v[178:179]
	v_fma_f64 v[168:169], v[158:159], s[6:7], v[160:161]
	v_add_f64 v[92:93], v[92:93], v[176:177]
	v_fma_f64 v[158:159], v[158:159], s[4:5], v[160:161]
	v_fma_f64 v[160:161], v[164:165], s[4:5], v[94:95]
	;; [unrolled: 1-line block ×4, first 2 shown]
	v_lshl_add_u32 v183, v216, 3, 0
	ds_write_b64 v82, v[20:21] offset:15120
	ds_write_b64 v82, v[18:19] offset:17280
	ds_write_b64 v183, v[2:3] offset:12960
	ds_write_b64 v183, v[22:23] offset:15120
	ds_write_b64 v183, v[10:11] offset:17280
	s_waitcnt lgkmcnt(0)
	s_barrier
	ds_read2_b64 v[0:3], v112 offset1:81
	ds_read2_b64 v[4:7], v113 offset0:42 offset1:123
	ds_read2_b64 v[8:11], v114 offset0:84 offset1:165
	;; [unrolled: 1-line block ×14, first 2 shown]
	s_waitcnt lgkmcnt(0)
	s_barrier
	ds_write2_b64 v112, v[92:93], v[166:167] offset1:81
	v_add_f64 v[92:93], v[140:141], v[144:145]
	v_add_f64 v[166:167], v[148:149], v[152:153]
	ds_write2_b64 v172, v[162:163], v[168:169] offset0:34 offset1:142
	v_add_f64 v[162:163], v[98:99], v[204:205]
	v_fma_f64 v[98:99], v[170:171], -0.5, v[98:99]
	ds_write2_b64 v131, v[158:159], v[160:161] offset0:28 offset1:109
	ds_write2_b64 v121, v[94:95], v[164:165] offset0:95 offset1:176
	v_add_f64 v[94:95], v[202:203], -v[150:151]
	v_fma_f64 v[96:97], v[142:143], s[4:5], v[96:97]
	v_add_f64 v[140:141], v[100:101], v[140:141]
	v_add_f64 v[142:143], v[102:103], v[148:149]
	v_fma_f64 v[92:93], v[92:93], -0.5, v[100:101]
	v_fma_f64 v[100:101], v[166:167], -0.5, v[102:103]
	v_add_f64 v[102:103], v[210:211], -v[214:215]
	v_add_f64 v[146:147], v[212:213], -v[146:147]
	v_add_f64 v[148:149], v[162:163], v[208:209]
	v_fma_f64 v[150:151], v[94:95], s[6:7], v[98:99]
	v_fma_f64 v[94:95], v[94:95], s[4:5], v[98:99]
	ds_write_b64 v112, v[96:97] offset:5616
	v_add_f64 v[96:97], v[140:141], v[144:145]
	v_add_f64 v[98:99], v[142:143], v[152:153]
	v_fma_f64 v[140:141], v[102:103], s[6:7], v[92:93]
	v_fma_f64 v[142:143], v[146:147], s[6:7], v[100:101]
	;; [unrolled: 1-line block ×4, first 2 shown]
	v_add_f64 v[102:103], v[66:67], v[58:59]
	ds_write_b64 v173, v[148:149]
	ds_write_b64 v173, v[150:151] offset:2160
	ds_write_b64 v173, v[94:95] offset:4320
	ds_write2_b64 v174, v[96:97], v[98:99] offset0:96 offset1:177
	v_add_f64 v[94:95], v[60:61], v[56:57]
	ds_write2_b64 v175, v[140:141], v[142:143] offset0:110 offset1:191
	ds_write2_b64 v180, v[92:93], v[100:101] offset0:124 offset1:205
	v_add_f64 v[92:93], v[80:81], v[138:139]
	v_add_f64 v[66:67], v[104:105], v[66:67]
	v_fma_f64 v[96:97], v[102:103], -0.5, v[104:105]
	v_add_f64 v[98:99], v[86:87], v[156:157]
	v_add_f64 v[46:47], v[46:47], -v[62:63]
	v_add_f64 v[60:61], v[106:107], v[60:61]
	v_fma_f64 v[94:95], v[94:95], -0.5, v[106:107]
	v_add_f64 v[44:45], v[44:45], -v[68:69]
	v_add_f64 v[62:63], v[108:109], v[80:81]
	v_fma_f64 v[80:81], v[92:93], -0.5, v[108:109]
	v_add_f64 v[58:59], v[66:67], v[58:59]
	v_add_f64 v[66:67], v[70:71], -v[136:137]
	v_add_f64 v[86:87], v[110:111], v[86:87]
	v_fma_f64 v[68:69], v[98:99], -0.5, v[110:111]
	v_fma_f64 v[70:71], v[46:47], s[6:7], v[96:97]
	v_add_f64 v[64:65], v[64:65], -v[154:155]
	v_fma_f64 v[46:47], v[46:47], s[4:5], v[96:97]
	v_add_f64 v[56:57], v[60:61], v[56:57]
	v_fma_f64 v[60:61], v[44:45], s[6:7], v[94:95]
	v_fma_f64 v[44:45], v[44:45], s[4:5], v[94:95]
	v_add_f64 v[62:63], v[62:63], v[138:139]
	v_fma_f64 v[92:93], v[66:67], s[6:7], v[80:81]
	v_fma_f64 v[66:67], v[66:67], s[4:5], v[80:81]
	s_movk_i32 s12, 0x2000
	v_add_f64 v[80:81], v[86:87], v[156:157]
	v_fma_f64 v[86:87], v[64:65], s[6:7], v[68:69]
	v_fma_f64 v[64:65], v[64:65], s[4:5], v[68:69]
	ds_write_b64 v181, v[58:59]
	ds_write_b64 v181, v[70:71] offset:2160
	ds_write_b64 v181, v[46:47] offset:4320
	ds_write_b64 v182, v[56:57] offset:12960
	ds_write_b64 v182, v[60:61] offset:15120
	ds_write_b64 v182, v[44:45] offset:17280
	ds_write_b64 v82, v[62:63] offset:12960
	ds_write_b64 v82, v[92:93] offset:15120
	ds_write_b64 v82, v[66:67] offset:17280
	ds_write_b64 v183, v[80:81] offset:12960
	ds_write_b64 v183, v[86:87] offset:15120
	ds_write_b64 v183, v[64:65] offset:17280
	s_waitcnt lgkmcnt(0)
	s_barrier
	s_and_saveexec_b64 s[14:15], s[0:1]
	s_cbranch_execz .LBB0_13
; %bb.12:
	v_lshlrev_b32_e32 v82, 1, v119
	v_lshlrev_b64 v[44:45], 4, v[82:83]
	v_mov_b32_e32 v153, s9
	v_add_co_u32_e32 v44, vcc, s8, v44
	v_addc_co_u32_e32 v45, vcc, v153, v45, vcc
	v_add_co_u32_e32 v68, vcc, 0x3200, v44
	v_addc_co_u32_e32 v69, vcc, 0, v45, vcc
	v_add_co_u32_e32 v70, vcc, 0x3000, v44
	v_lshlrev_b32_e32 v82, 1, v124
	v_addc_co_u32_e32 v71, vcc, 0, v45, vcc
	v_lshlrev_b64 v[44:45], 4, v[82:83]
	s_movk_i32 s0, 0x3200
	v_add_co_u32_e32 v44, vcc, s8, v44
	v_addc_co_u32_e32 v45, vcc, v153, v45, vcc
	v_add_co_u32_e32 v80, vcc, s0, v44
	v_addc_co_u32_e32 v81, vcc, 0, v45, vcc
	;; [unrolled: 2-line block ×3, first 2 shown]
	global_load_dwordx4 v[44:47], v[86:87], off offset:512
	global_load_dwordx4 v[56:59], v[80:81], off offset:16
	;; [unrolled: 1-line block ×4, first 2 shown]
	v_lshlrev_b32_e32 v82, 1, v135
	v_lshlrev_b64 v[68:69], 4, v[82:83]
	v_lshlrev_b32_e32 v82, 1, v118
	v_add_co_u32_e32 v80, vcc, s8, v68
	v_addc_co_u32_e32 v81, vcc, v153, v69, vcc
	v_add_co_u32_e32 v68, vcc, s11, v80
	v_addc_co_u32_e32 v69, vcc, 0, v81, vcc
	global_load_dwordx4 v[68:71], v[68:69], off offset:512
	v_add_co_u32_e32 v80, vcc, s0, v80
	v_addc_co_u32_e32 v81, vcc, 0, v81, vcc
	global_load_dwordx4 v[92:95], v[80:81], off offset:16
	v_lshlrev_b64 v[80:81], 4, v[82:83]
	v_lshlrev_b32_e32 v82, 1, v117
	v_lshlrev_b64 v[86:87], 4, v[82:83]
	v_add_co_u32_e32 v82, vcc, s8, v80
	ds_read2_b64 v[96:99], v131 offset0:136 offset1:217
	ds_read2_b64 v[100:103], v132 offset0:50 offset1:131
	;; [unrolled: 1-line block ×5, first 2 shown]
	v_addc_co_u32_e32 v133, vcc, v153, v81, vcc
	v_add_co_u32_e32 v80, vcc, s0, v82
	v_addc_co_u32_e32 v81, vcc, 0, v133, vcc
	v_add_co_u32_e32 v135, vcc, s11, v82
	v_addc_co_u32_e32 v136, vcc, 0, v133, vcc
	global_load_dwordx4 v[135:138], v[135:136], off offset:512
	s_nop 0
	global_load_dwordx4 v[139:142], v[80:81], off offset:16
	v_add_co_u32_e32 v82, vcc, s8, v86
	v_addc_co_u32_e32 v133, vcc, v153, v87, vcc
	s_movk_i32 s1, 0x7000
	s_waitcnt vmcnt(7)
	v_mul_f64 v[80:81], v[36:37], v[46:47]
	s_waitcnt vmcnt(6)
	v_mul_f64 v[86:87], v[40:41], v[58:59]
	s_waitcnt vmcnt(5)
	v_mul_f64 v[143:144], v[38:39], v[62:63]
	s_waitcnt vmcnt(4)
	v_mul_f64 v[145:146], v[42:43], v[66:67]
	s_waitcnt lgkmcnt(3)
	v_mul_f64 v[62:63], v[102:103], v[62:63]
	s_waitcnt lgkmcnt(2)
	v_mul_f64 v[66:67], v[106:107], v[66:67]
	v_mul_f64 v[46:47], v[100:101], v[46:47]
	;; [unrolled: 1-line block ×3, first 2 shown]
	v_fma_f64 v[80:81], v[44:45], v[100:101], -v[80:81]
	v_fma_f64 v[86:87], v[56:57], v[104:105], -v[86:87]
	;; [unrolled: 1-line block ×4, first 2 shown]
	v_fma_f64 v[38:39], v[38:39], v[60:61], v[62:63]
	v_fma_f64 v[42:43], v[42:43], v[64:65], v[66:67]
	;; [unrolled: 1-line block ×4, first 2 shown]
	v_add_co_u32_e32 v60, vcc, s0, v82
	v_add_f64 v[40:41], v[80:81], v[86:87]
	v_add_f64 v[64:65], v[100:101], v[102:103]
	;; [unrolled: 1-line block ×4, first 2 shown]
	v_add_f64 v[56:57], v[38:39], -v[42:43]
	v_add_f64 v[38:39], v[50:51], v[38:39]
	v_addc_co_u32_e32 v61, vcc, 0, v133, vcc
	s_waitcnt vmcnt(3)
	v_mul_f64 v[62:63], v[74:75], v[70:71]
	v_fma_f64 v[58:59], v[64:65], -0.5, v[98:99]
	v_add_f64 v[64:65], v[100:101], -v[102:103]
	v_fma_f64 v[50:51], v[36:37], -0.5, v[50:51]
	v_fma_f64 v[147:148], v[40:41], -0.5, v[96:97]
	v_add_f64 v[46:47], v[44:45], v[102:103]
	s_waitcnt vmcnt(2)
	v_mul_f64 v[143:144], v[78:79], v[94:95]
	v_add_f64 v[145:146], v[66:67], -v[106:107]
	v_add_f64 v[44:45], v[38:39], v[42:43]
	v_fma_f64 v[38:39], v[56:57], s[4:5], v[58:59]
	v_fma_f64 v[42:43], v[56:57], s[6:7], v[58:59]
	;; [unrolled: 1-line block ×4, first 2 shown]
	v_add_co_u32_e32 v50, vcc, s11, v82
	v_addc_co_u32_e32 v51, vcc, 0, v133, vcc
	global_load_dwordx4 v[98:101], v[50:51], off offset:512
	global_load_dwordx4 v[102:105], v[60:61], off offset:16
	s_waitcnt lgkmcnt(1)
	v_mul_f64 v[60:61], v[110:111], v[70:71]
	v_fma_f64 v[64:65], v[68:69], v[110:111], -v[62:63]
	s_waitcnt lgkmcnt(0)
	v_mul_f64 v[62:63], v[131:132], v[94:95]
	v_lshlrev_b32_e32 v82, 1, v134
	v_fma_f64 v[50:51], v[145:146], s[4:5], v[147:148]
	v_fma_f64 v[149:150], v[92:93], v[131:132], -v[143:144]
	v_fma_f64 v[58:59], v[145:146], s[6:7], v[147:148]
	v_add_f64 v[70:71], v[96:97], v[80:81]
	v_fma_f64 v[68:69], v[74:75], v[68:69], v[60:61]
	v_lshlrev_b64 v[60:61], 4, v[82:83]
	v_fma_f64 v[74:75], v[78:79], v[92:93], v[62:63]
	v_add_co_u32_e32 v62, vcc, s8, v60
	v_addc_co_u32_e32 v63, vcc, v153, v61, vcc
	v_add_co_u32_e32 v60, vcc, s0, v62
	v_addc_co_u32_e32 v61, vcc, 0, v63, vcc
	;; [unrolled: 2-line block ×3, first 2 shown]
	ds_read2_b64 v[94:97], v127 offset0:102 offset1:183
	global_load_dwordx4 v[131:134], v[62:63], off offset:512
	global_load_dwordx4 v[143:146], v[60:61], off offset:16
	v_add_f64 v[110:111], v[64:65], v[149:150]
	s_waitcnt vmcnt(5)
	v_mul_f64 v[60:61], v[72:73], v[137:138]
	v_add_f64 v[56:57], v[66:67], v[106:107]
	v_add_f64 v[80:81], v[80:81], -v[86:87]
	s_waitcnt vmcnt(4)
	v_mul_f64 v[78:79], v[76:77], v[141:142]
	v_add_f64 v[62:63], v[70:71], v[86:87]
	v_add_f64 v[66:67], v[48:49], v[66:67]
	;; [unrolled: 1-line block ×3, first 2 shown]
	s_waitcnt lgkmcnt(0)
	v_fma_f64 v[86:87], v[110:111], -0.5, v[96:97]
	v_add_f64 v[92:93], v[68:69], -v[74:75]
	v_fma_f64 v[110:111], v[135:136], v[108:109], -v[60:61]
	v_mul_f64 v[108:109], v[108:109], v[137:138]
	v_lshlrev_b32_e32 v82, 1, v128
	v_fma_f64 v[56:57], v[56:57], -0.5, v[48:49]
	v_fma_f64 v[147:148], v[139:140], v[129:130], -v[78:79]
	v_add_f64 v[60:61], v[66:67], v[106:107]
	v_add_f64 v[78:79], v[96:97], v[64:65]
	v_fma_f64 v[96:97], v[70:71], -0.5, v[54:55]
	v_add_f64 v[106:107], v[64:65], -v[149:150]
	v_fma_f64 v[66:67], v[92:93], s[4:5], v[86:87]
	v_add_f64 v[54:55], v[54:55], v[68:69]
	v_fma_f64 v[70:71], v[92:93], s[6:7], v[86:87]
	v_fma_f64 v[86:87], v[72:73], v[135:136], v[108:109]
	v_lshlrev_b64 v[72:73], 4, v[82:83]
	v_fma_f64 v[48:49], v[80:81], s[6:7], v[56:57]
	v_add_co_u32_e32 v82, vcc, s8, v72
	v_addc_co_u32_e32 v93, vcc, v153, v73, vcc
	v_add_co_u32_e32 v72, vcc, s11, v82
	v_addc_co_u32_e32 v73, vcc, 0, v93, vcc
	;; [unrolled: 2-line block ×3, first 2 shown]
	v_fma_f64 v[56:57], v[80:81], s[4:5], v[56:57]
	v_add_f64 v[80:81], v[78:79], v[149:150]
	v_fma_f64 v[64:65], v[106:107], s[6:7], v[96:97]
	v_fma_f64 v[68:69], v[106:107], s[4:5], v[96:97]
	v_add_f64 v[78:79], v[54:55], v[74:75]
	global_load_dwordx4 v[72:75], v[72:73], off offset:512
	v_mul_f64 v[129:130], v[129:130], v[141:142]
	global_load_dwordx4 v[106:109], v[92:93], off offset:16
	v_add_f64 v[151:152], v[110:111], v[147:148]
	v_fma_f64 v[76:77], v[76:77], v[139:140], v[129:130]
	v_add_co_u32_e32 v139, vcc, s0, v90
	v_addc_co_u32_e32 v140, vcc, 0, v91, vcc
	v_add_co_u32_e32 v90, vcc, s11, v90
	v_addc_co_u32_e32 v91, vcc, 0, v91, vcc
	ds_read2_b64 v[127:130], v125 offset0:110 offset1:191
	ds_read2_b64 v[135:138], v126 offset0:152 offset1:233
	global_load_dwordx4 v[90:93], v[90:91], off offset:512
	s_nop 0
	global_load_dwordx4 v[139:142], v[139:140], off offset:16
	v_fma_f64 v[54:55], v[151:152], -0.5, v[94:95]
	v_add_f64 v[96:97], v[86:87], v[76:77]
	s_waitcnt vmcnt(7)
	v_mul_f64 v[125:126], v[30:31], v[100:101]
	s_waitcnt vmcnt(6)
	v_mul_f64 v[151:152], v[34:35], v[104:105]
	s_waitcnt lgkmcnt(1)
	v_mul_f64 v[100:101], v[129:130], v[100:101]
	v_add_f64 v[149:150], v[86:87], -v[76:77]
	s_waitcnt lgkmcnt(0)
	v_mul_f64 v[104:105], v[137:138], v[104:105]
	v_add_f64 v[94:95], v[94:95], v[110:111]
	v_add_f64 v[110:111], v[110:111], -v[147:148]
	v_fma_f64 v[153:154], v[96:97], -0.5, v[52:53]
	v_fma_f64 v[129:130], v[98:99], v[129:130], -v[125:126]
	v_fma_f64 v[137:138], v[102:103], v[137:138], -v[151:152]
	v_fma_f64 v[151:152], v[30:31], v[98:99], v[100:101]
	v_add_f64 v[30:31], v[52:53], v[86:87]
	v_add_co_u32_e32 v52, vcc, s0, v88
	v_addc_co_u32_e32 v53, vcc, 0, v89, vcc
	v_add_co_u32_e32 v86, vcc, s11, v88
	v_addc_co_u32_e32 v87, vcc, 0, v89, vcc
	v_fma_f64 v[96:97], v[149:150], s[4:5], v[54:55]
	v_fma_f64 v[155:156], v[34:35], v[102:103], v[104:105]
	;; [unrolled: 1-line block ×3, first 2 shown]
	v_add_f64 v[54:55], v[94:95], v[147:148]
	ds_read2_b64 v[102:105], v121 offset0:68 offset1:149
	global_load_dwordx4 v[86:89], v[86:87], off offset:512
	s_nop 0
	global_load_dwordx4 v[147:150], v[52:53], off offset:16
	v_fma_f64 v[94:95], v[110:111], s[6:7], v[153:154]
	v_fma_f64 v[98:99], v[110:111], s[4:5], v[153:154]
	s_waitcnt vmcnt(7)
	v_mul_f64 v[125:126], v[28:29], v[133:134]
	s_waitcnt vmcnt(6)
	v_mul_f64 v[153:154], v[32:33], v[145:146]
	v_add_f64 v[52:53], v[30:31], v[76:77]
	v_add_co_u32_e32 v30, vcc, s0, v84
	v_addc_co_u32_e32 v31, vcc, 0, v85, vcc
	v_add_co_u32_e32 v84, vcc, s11, v84
	v_addc_co_u32_e32 v85, vcc, 0, v85, vcc
	v_fma_f64 v[157:158], v[131:132], v[127:128], -v[125:126]
	v_fma_f64 v[159:160], v[143:144], v[135:136], -v[153:154]
	v_mul_f64 v[153:154], v[127:128], v[133:134]
	v_mul_f64 v[161:162], v[135:136], v[145:146]
	global_load_dwordx4 v[125:128], v[84:85], off offset:512
	global_load_dwordx4 v[133:136], v[30:31], off offset:16
	v_add_f64 v[34:35], v[129:130], v[137:138]
	v_add_f64 v[110:111], v[151:152], v[155:156]
	v_add_f64 v[76:77], v[151:152], -v[155:156]
	v_add_f64 v[84:85], v[129:130], -v[137:138]
	v_mov_b32_e32 v121, v83
	s_movk_i32 s0, 0x6000
	v_fma_f64 v[161:162], v[32:33], v[143:144], v[161:162]
	s_waitcnt lgkmcnt(0)
	v_fma_f64 v[34:35], v[34:35], -0.5, v[104:105]
	v_add_f64 v[104:105], v[104:105], v[129:130]
	v_fma_f64 v[110:111], v[110:111], -0.5, v[26:27]
	v_add_f64 v[26:27], v[26:27], v[151:152]
	v_fma_f64 v[30:31], v[76:77], s[4:5], v[34:35]
	v_fma_f64 v[34:35], v[76:77], s[6:7], v[34:35]
	v_add_f64 v[76:77], v[157:158], v[159:160]
	v_add_f64 v[145:146], v[104:105], v[137:138]
	v_fma_f64 v[137:138], v[28:29], v[131:132], v[153:154]
	v_fma_f64 v[28:29], v[84:85], s[6:7], v[110:111]
	;; [unrolled: 1-line block ×3, first 2 shown]
	v_add_f64 v[143:144], v[26:27], v[155:156]
	s_waitcnt vmcnt(7)
	v_mul_f64 v[26:27], v[18:19], v[74:75]
	s_waitcnt vmcnt(6)
	v_mul_f64 v[84:85], v[22:23], v[108:109]
	ds_read2_b64 v[129:132], v116 offset0:76 offset1:157
	ds_read2_b64 v[151:154], v115 offset0:118 offset1:199
	v_fma_f64 v[76:77], v[76:77], -0.5, v[102:103]
	v_add_f64 v[104:105], v[137:138], -v[161:162]
	v_add_f64 v[110:111], v[137:138], v[161:162]
	v_add_f64 v[102:103], v[102:103], v[157:158]
	s_waitcnt lgkmcnt(1)
	v_fma_f64 v[115:116], v[72:73], v[131:132], -v[26:27]
	v_mul_f64 v[131:132], v[131:132], v[74:75]
	s_waitcnt lgkmcnt(0)
	v_mul_f64 v[108:109], v[153:154], v[108:109]
	v_fma_f64 v[84:85], v[106:107], v[153:154], -v[84:85]
	s_waitcnt vmcnt(4)
	v_mul_f64 v[155:156], v[20:21], v[141:142]
	v_fma_f64 v[74:75], v[104:105], s[4:5], v[76:77]
	v_fma_f64 v[104:105], v[104:105], s[6:7], v[76:77]
	v_fma_f64 v[76:77], v[110:111], -0.5, v[24:25]
	v_add_f64 v[110:111], v[157:158], -v[159:160]
	v_fma_f64 v[131:132], v[18:19], v[72:73], v[131:132]
	v_fma_f64 v[153:154], v[22:23], v[106:107], v[108:109]
	v_add_f64 v[18:19], v[115:116], v[84:85]
	v_mul_f64 v[22:23], v[16:17], v[92:93]
	ds_read2_b64 v[106:109], v112 offset0:162 offset1:243
	v_add_f64 v[26:27], v[102:103], v[159:160]
	v_add_f64 v[24:25], v[24:25], v[137:138]
	v_fma_f64 v[72:73], v[110:111], s[6:7], v[76:77]
	v_fma_f64 v[102:103], v[110:111], s[4:5], v[76:77]
	v_add_f64 v[76:77], v[131:132], v[153:154]
	s_waitcnt lgkmcnt(0)
	v_fma_f64 v[110:111], v[18:19], -0.5, v[108:109]
	v_fma_f64 v[137:138], v[90:91], v[129:130], -v[22:23]
	v_fma_f64 v[155:156], v[139:140], v[151:152], -v[155:156]
	v_mul_f64 v[18:19], v[129:130], v[92:93]
	v_mul_f64 v[22:23], v[151:152], v[141:142]
	v_add_f64 v[92:93], v[131:132], -v[153:154]
	v_add_f64 v[108:109], v[108:109], v[115:116]
	v_fma_f64 v[76:77], v[76:77], -0.5, v[14:15]
	v_add_f64 v[115:116], v[115:116], -v[84:85]
	v_add_f64 v[14:15], v[14:15], v[131:132]
	v_add_f64 v[129:130], v[137:138], v[155:156]
	v_fma_f64 v[141:142], v[16:17], v[90:91], v[18:19]
	v_fma_f64 v[139:140], v[20:21], v[139:140], v[22:23]
	;; [unrolled: 1-line block ×4, first 2 shown]
	v_add_f64 v[92:93], v[108:109], v[84:85]
	v_fma_f64 v[16:17], v[115:116], s[6:7], v[76:77]
	v_fma_f64 v[20:21], v[115:116], s[4:5], v[76:77]
	v_fma_f64 v[76:77], v[129:130], -0.5, v[106:107]
	s_waitcnt vmcnt(3)
	v_mul_f64 v[129:130], v[6:7], v[88:89]
	v_add_f64 v[84:85], v[141:142], -v[139:140]
	s_waitcnt vmcnt(2)
	v_mul_f64 v[131:132], v[10:11], v[149:150]
	v_add_f64 v[151:152], v[106:107], v[137:138]
	ds_read2_b64 v[106:109], v113 offset0:42 offset1:123
	ds_read2_b64 v[113:116], v114 offset0:84 offset1:165
	v_add_f64 v[90:91], v[14:15], v[153:154]
	v_add_f64 v[153:154], v[141:142], v[139:140]
	;; [unrolled: 1-line block ×3, first 2 shown]
	s_waitcnt lgkmcnt(1)
	v_fma_f64 v[157:158], v[86:87], v[108:109], -v[129:130]
	v_fma_f64 v[110:111], v[84:85], s[4:5], v[76:77]
	s_waitcnt lgkmcnt(0)
	v_fma_f64 v[159:160], v[147:148], v[115:116], -v[131:132]
	v_mul_f64 v[108:109], v[108:109], v[88:89]
	v_fma_f64 v[14:15], v[84:85], s[6:7], v[76:77]
	v_mul_f64 v[76:77], v[115:116], v[149:150]
	v_add_f64 v[115:116], v[137:138], -v[155:156]
	s_waitcnt vmcnt(0)
	v_mul_f64 v[149:150], v[8:9], v[135:136]
	ds_read2_b64 v[129:132], v112 offset1:81
	v_fma_f64 v[84:85], v[153:154], -0.5, v[12:13]
	v_add_f64 v[137:138], v[157:158], v[159:160]
	v_fma_f64 v[6:7], v[6:7], v[86:87], v[108:109]
	v_mul_f64 v[86:87], v[4:5], v[127:128]
	v_fma_f64 v[10:11], v[10:11], v[147:148], v[76:77]
	v_mul_f64 v[76:77], v[106:107], v[127:128]
	v_mul_f64 v[127:128], v[113:114], v[135:136]
	v_add_f64 v[135:136], v[12:13], v[141:142]
	v_fma_f64 v[141:142], v[133:134], v[113:114], -v[149:150]
	s_waitcnt lgkmcnt(0)
	v_fma_f64 v[137:138], v[137:138], -0.5, v[131:132]
	v_fma_f64 v[108:109], v[115:116], s[6:7], v[84:85]
	v_fma_f64 v[106:107], v[125:126], v[106:107], -v[86:87]
	v_add_f64 v[112:113], v[6:7], -v[10:11]
	v_fma_f64 v[76:77], v[4:5], v[125:126], v[76:77]
	v_fma_f64 v[133:134], v[8:9], v[133:134], v[127:128]
	;; [unrolled: 1-line block ×3, first 2 shown]
	v_add_f64 v[84:85], v[131:132], v[157:158]
	v_add_f64 v[125:126], v[6:7], v[10:11]
	;; [unrolled: 1-line block ×4, first 2 shown]
	v_fma_f64 v[4:5], v[112:113], s[4:5], v[137:138]
	v_fma_f64 v[8:9], v[112:113], s[6:7], v[137:138]
	v_add_f64 v[112:113], v[76:77], v[133:134]
	v_add_f64 v[131:132], v[157:158], -v[159:160]
	v_add_f64 v[114:115], v[84:85], v[159:160]
	v_add_f64 v[84:85], v[2:3], v[6:7]
	v_fma_f64 v[125:126], v[125:126], -0.5, v[2:3]
	v_fma_f64 v[135:136], v[127:128], -0.5, v[129:130]
	v_add_f64 v[137:138], v[76:77], -v[133:134]
	v_add_f64 v[129:130], v[129:130], v[106:107]
	v_fma_f64 v[139:140], v[112:113], -0.5, v[0:1]
	v_add_f64 v[0:1], v[0:1], v[76:77]
	v_add_f64 v[106:107], v[106:107], -v[141:142]
	v_add_f64 v[112:113], v[84:85], v[10:11]
	v_add_co_u32_e32 v84, vcc, s2, v122
	v_fma_f64 v[2:3], v[131:132], s[6:7], v[125:126]
	v_fma_f64 v[6:7], v[131:132], s[4:5], v[125:126]
	;; [unrolled: 1-line block ×3, first 2 shown]
	v_add_f64 v[133:134], v[0:1], v[133:134]
	v_mov_b32_e32 v0, s3
	v_fma_f64 v[131:132], v[137:138], s[6:7], v[135:136]
	v_add_f64 v[135:136], v[129:130], v[141:142]
	v_fma_f64 v[125:126], v[106:107], s[6:7], v[139:140]
	v_fma_f64 v[129:130], v[106:107], s[4:5], v[139:140]
	v_addc_co_u32_e32 v85, vcc, v0, v123, vcc
	v_lshlrev_b64 v[0:1], 4, v[120:121]
	v_add_f64 v[88:89], v[151:152], v[155:156]
	v_add_co_u32_e32 v0, vcc, v84, v0
	v_addc_co_u32_e32 v1, vcc, v85, v1, vcc
	v_add_co_u32_e32 v10, vcc, s11, v0
	v_addc_co_u32_e32 v11, vcc, 0, v1, vcc
	;; [unrolled: 2-line block ×3, first 2 shown]
	global_store_dwordx4 v[0:1], v[133:136], off
	global_store_dwordx4 v[10:11], v[129:132], off offset:672
	global_store_dwordx4 v[76:77], v[125:128], off offset:1344
	;; [unrolled: 1-line block ×9, first 2 shown]
	v_add_co_u32_e32 v2, vcc, s13, v0
	v_addc_co_u32_e32 v3, vcc, 0, v1, vcc
	v_add_co_u32_e32 v4, vcc, s1, v0
	s_mov_b32 s1, 0x50e89cc3
	v_mul_hi_u32 v8, v117, s1
	v_addc_co_u32_e32 v5, vcc, 0, v1, vcc
	v_add_co_u32_e32 v6, vcc, s10, v0
	v_addc_co_u32_e32 v7, vcc, 0, v1, vcc
	global_store_dwordx4 v[2:3], v[20:23], off offset:464
	global_store_dwordx4 v[4:5], v[16:19], off offset:1136
	global_store_dwordx4 v[6:7], v[24:27], off offset:1088
	global_store_dwordx4 v[2:3], v[102:105], off offset:1760
	global_store_dwordx4 v[4:5], v[72:75], off offset:2432
	v_lshrrev_b32_e32 v2, 8, v8
	s_movk_i32 s2, 0x654
	v_mad_u32_u24 v82, v2, s2, v117
	v_lshlrev_b64 v[2:3], 4, v[82:83]
	s_movk_i32 s3, 0x5000
	v_add_co_u32_e32 v2, vcc, v84, v2
	v_addc_co_u32_e32 v3, vcc, v85, v3, vcc
	v_add_co_u32_e32 v4, vcc, s11, v2
	v_addc_co_u32_e32 v5, vcc, 0, v3, vcc
	global_store_dwordx4 v[4:5], v[32:35], off offset:672
	v_mul_hi_u32 v4, v118, s1
	global_store_dwordx4 v[2:3], v[143:146], off
	v_add_co_u32_e32 v2, vcc, s0, v2
	v_addc_co_u32_e32 v3, vcc, 0, v3, vcc
	global_store_dwordx4 v[2:3], v[28:31], off offset:1344
	v_lshrrev_b32_e32 v2, 8, v4
	v_mad_u32_u24 v82, v2, s2, v118
	v_lshlrev_b64 v[2:3], 4, v[82:83]
	v_add_co_u32_e32 v2, vcc, v84, v2
	v_addc_co_u32_e32 v3, vcc, v85, v3, vcc
	v_add_co_u32_e32 v4, vcc, s11, v2
	v_addc_co_u32_e32 v5, vcc, 0, v3, vcc
	global_store_dwordx4 v[2:3], v[52:55], off
	v_add_co_u32_e32 v2, vcc, s0, v2
	v_addc_co_u32_e32 v3, vcc, 0, v3, vcc
	global_store_dwordx4 v[2:3], v[94:97], off offset:1344
	v_add_co_u32_e32 v2, vcc, s12, v0
	v_addc_co_u32_e32 v3, vcc, 0, v1, vcc
	global_store_dwordx4 v[2:3], v[78:81], off offset:880
	v_add_co_u32_e32 v2, vcc, s3, v0
	v_addc_co_u32_e32 v3, vcc, 0, v1, vcc
	global_store_dwordx4 v[4:5], v[98:101], off offset:672
	global_store_dwordx4 v[2:3], v[68:71], off offset:1552
	v_mul_hi_u32 v2, v124, s1
	s_mov_b32 s3, 0x8000
	v_add_co_u32_e32 v0, vcc, s3, v0
	v_addc_co_u32_e32 v1, vcc, 0, v1, vcc
	global_store_dwordx4 v[0:1], v[64:67], off offset:2224
	v_lshrrev_b32_e32 v0, 8, v2
	v_mad_u32_u24 v82, v0, s2, v124
	v_lshlrev_b64 v[0:1], 4, v[82:83]
	v_add_co_u32_e32 v0, vcc, v84, v0
	v_addc_co_u32_e32 v1, vcc, v85, v1, vcc
	v_add_co_u32_e32 v2, vcc, s11, v0
	v_addc_co_u32_e32 v3, vcc, 0, v1, vcc
	global_store_dwordx4 v[2:3], v[56:59], off offset:672
	v_mul_hi_u32 v2, v119, s1
	global_store_dwordx4 v[0:1], v[60:63], off
	v_add_co_u32_e32 v0, vcc, s0, v0
	v_addc_co_u32_e32 v1, vcc, 0, v1, vcc
	global_store_dwordx4 v[0:1], v[48:51], off offset:1344
	v_lshrrev_b32_e32 v0, 8, v2
	v_mad_u32_u24 v82, v0, s2, v119
	v_lshlrev_b64 v[0:1], 4, v[82:83]
	v_add_co_u32_e32 v0, vcc, v84, v0
	v_addc_co_u32_e32 v1, vcc, v85, v1, vcc
	v_add_co_u32_e32 v2, vcc, 0x3000, v0
	v_addc_co_u32_e32 v3, vcc, 0, v1, vcc
	global_store_dwordx4 v[0:1], v[44:47], off
	v_add_co_u32_e32 v0, vcc, 0x6000, v0
	v_addc_co_u32_e32 v1, vcc, 0, v1, vcc
	global_store_dwordx4 v[2:3], v[40:43], off offset:672
	global_store_dwordx4 v[0:1], v[36:39], off offset:1344
.LBB0_13:
	s_endpgm
	.section	.rodata,"a",@progbits
	.p2align	6, 0x0
	.amdhsa_kernel fft_rtc_back_len2430_factors_10_3_3_3_3_3_wgs_81_tpt_81_halfLds_dp_ip_CI_unitstride_sbrr_dirReg
		.amdhsa_group_segment_fixed_size 0
		.amdhsa_private_segment_fixed_size 0
		.amdhsa_kernarg_size 88
		.amdhsa_user_sgpr_count 6
		.amdhsa_user_sgpr_private_segment_buffer 1
		.amdhsa_user_sgpr_dispatch_ptr 0
		.amdhsa_user_sgpr_queue_ptr 0
		.amdhsa_user_sgpr_kernarg_segment_ptr 1
		.amdhsa_user_sgpr_dispatch_id 0
		.amdhsa_user_sgpr_flat_scratch_init 0
		.amdhsa_user_sgpr_private_segment_size 0
		.amdhsa_uses_dynamic_stack 0
		.amdhsa_system_sgpr_private_segment_wavefront_offset 0
		.amdhsa_system_sgpr_workgroup_id_x 1
		.amdhsa_system_sgpr_workgroup_id_y 0
		.amdhsa_system_sgpr_workgroup_id_z 0
		.amdhsa_system_sgpr_workgroup_info 0
		.amdhsa_system_vgpr_workitem_id 0
		.amdhsa_next_free_vgpr 220
		.amdhsa_next_free_sgpr 22
		.amdhsa_reserve_vcc 1
		.amdhsa_reserve_flat_scratch 0
		.amdhsa_float_round_mode_32 0
		.amdhsa_float_round_mode_16_64 0
		.amdhsa_float_denorm_mode_32 3
		.amdhsa_float_denorm_mode_16_64 3
		.amdhsa_dx10_clamp 1
		.amdhsa_ieee_mode 1
		.amdhsa_fp16_overflow 0
		.amdhsa_exception_fp_ieee_invalid_op 0
		.amdhsa_exception_fp_denorm_src 0
		.amdhsa_exception_fp_ieee_div_zero 0
		.amdhsa_exception_fp_ieee_overflow 0
		.amdhsa_exception_fp_ieee_underflow 0
		.amdhsa_exception_fp_ieee_inexact 0
		.amdhsa_exception_int_div_zero 0
	.end_amdhsa_kernel
	.text
.Lfunc_end0:
	.size	fft_rtc_back_len2430_factors_10_3_3_3_3_3_wgs_81_tpt_81_halfLds_dp_ip_CI_unitstride_sbrr_dirReg, .Lfunc_end0-fft_rtc_back_len2430_factors_10_3_3_3_3_3_wgs_81_tpt_81_halfLds_dp_ip_CI_unitstride_sbrr_dirReg
                                        ; -- End function
	.section	.AMDGPU.csdata,"",@progbits
; Kernel info:
; codeLenInByte = 21360
; NumSgprs: 26
; NumVgprs: 220
; ScratchSize: 0
; MemoryBound: 1
; FloatMode: 240
; IeeeMode: 1
; LDSByteSize: 0 bytes/workgroup (compile time only)
; SGPRBlocks: 3
; VGPRBlocks: 54
; NumSGPRsForWavesPerEU: 26
; NumVGPRsForWavesPerEU: 220
; Occupancy: 1
; WaveLimiterHint : 1
; COMPUTE_PGM_RSRC2:SCRATCH_EN: 0
; COMPUTE_PGM_RSRC2:USER_SGPR: 6
; COMPUTE_PGM_RSRC2:TRAP_HANDLER: 0
; COMPUTE_PGM_RSRC2:TGID_X_EN: 1
; COMPUTE_PGM_RSRC2:TGID_Y_EN: 0
; COMPUTE_PGM_RSRC2:TGID_Z_EN: 0
; COMPUTE_PGM_RSRC2:TIDIG_COMP_CNT: 0
	.type	__hip_cuid_abe895ea69f123bf,@object ; @__hip_cuid_abe895ea69f123bf
	.section	.bss,"aw",@nobits
	.globl	__hip_cuid_abe895ea69f123bf
__hip_cuid_abe895ea69f123bf:
	.byte	0                               ; 0x0
	.size	__hip_cuid_abe895ea69f123bf, 1

	.ident	"AMD clang version 19.0.0git (https://github.com/RadeonOpenCompute/llvm-project roc-6.4.0 25133 c7fe45cf4b819c5991fe208aaa96edf142730f1d)"
	.section	".note.GNU-stack","",@progbits
	.addrsig
	.addrsig_sym __hip_cuid_abe895ea69f123bf
	.amdgpu_metadata
---
amdhsa.kernels:
  - .args:
      - .actual_access:  read_only
        .address_space:  global
        .offset:         0
        .size:           8
        .value_kind:     global_buffer
      - .offset:         8
        .size:           8
        .value_kind:     by_value
      - .actual_access:  read_only
        .address_space:  global
        .offset:         16
        .size:           8
        .value_kind:     global_buffer
      - .actual_access:  read_only
        .address_space:  global
        .offset:         24
        .size:           8
        .value_kind:     global_buffer
      - .offset:         32
        .size:           8
        .value_kind:     by_value
      - .actual_access:  read_only
        .address_space:  global
        .offset:         40
        .size:           8
        .value_kind:     global_buffer
      - .actual_access:  read_only
        .address_space:  global
        .offset:         48
        .size:           8
        .value_kind:     global_buffer
      - .offset:         56
        .size:           4
        .value_kind:     by_value
      - .actual_access:  read_only
        .address_space:  global
        .offset:         64
        .size:           8
        .value_kind:     global_buffer
      - .actual_access:  read_only
        .address_space:  global
        .offset:         72
        .size:           8
        .value_kind:     global_buffer
      - .address_space:  global
        .offset:         80
        .size:           8
        .value_kind:     global_buffer
    .group_segment_fixed_size: 0
    .kernarg_segment_align: 8
    .kernarg_segment_size: 88
    .language:       OpenCL C
    .language_version:
      - 2
      - 0
    .max_flat_workgroup_size: 81
    .name:           fft_rtc_back_len2430_factors_10_3_3_3_3_3_wgs_81_tpt_81_halfLds_dp_ip_CI_unitstride_sbrr_dirReg
    .private_segment_fixed_size: 0
    .sgpr_count:     26
    .sgpr_spill_count: 0
    .symbol:         fft_rtc_back_len2430_factors_10_3_3_3_3_3_wgs_81_tpt_81_halfLds_dp_ip_CI_unitstride_sbrr_dirReg.kd
    .uniform_work_group_size: 1
    .uses_dynamic_stack: false
    .vgpr_count:     220
    .vgpr_spill_count: 0
    .wavefront_size: 64
amdhsa.target:   amdgcn-amd-amdhsa--gfx906
amdhsa.version:
  - 1
  - 2
...

	.end_amdgpu_metadata
